;; amdgpu-corpus repo=pytorch/pytorch kind=compiled arch=gfx1030 opt=O3
	.amdgcn_target "amdgcn-amd-amdhsa--gfx1030"
	.amdhsa_code_object_version 6
	.section	.text._ZN2at6native29vectorized_elementwise_kernelILi16EZZZNS0_12_GLOBAL__N_131spherical_bessel_j0_kernel_cudaERNS_18TensorIteratorBaseEENKUlvE_clEvENKUlvE_clEvEUldE_St5arrayIPcLm2EEEEviT0_T1_,"axG",@progbits,_ZN2at6native29vectorized_elementwise_kernelILi16EZZZNS0_12_GLOBAL__N_131spherical_bessel_j0_kernel_cudaERNS_18TensorIteratorBaseEENKUlvE_clEvENKUlvE_clEvEUldE_St5arrayIPcLm2EEEEviT0_T1_,comdat
	.globl	_ZN2at6native29vectorized_elementwise_kernelILi16EZZZNS0_12_GLOBAL__N_131spherical_bessel_j0_kernel_cudaERNS_18TensorIteratorBaseEENKUlvE_clEvENKUlvE_clEvEUldE_St5arrayIPcLm2EEEEviT0_T1_ ; -- Begin function _ZN2at6native29vectorized_elementwise_kernelILi16EZZZNS0_12_GLOBAL__N_131spherical_bessel_j0_kernel_cudaERNS_18TensorIteratorBaseEENKUlvE_clEvENKUlvE_clEvEUldE_St5arrayIPcLm2EEEEviT0_T1_
	.p2align	8
	.type	_ZN2at6native29vectorized_elementwise_kernelILi16EZZZNS0_12_GLOBAL__N_131spherical_bessel_j0_kernel_cudaERNS_18TensorIteratorBaseEENKUlvE_clEvENKUlvE_clEvEUldE_St5arrayIPcLm2EEEEviT0_T1_,@function
_ZN2at6native29vectorized_elementwise_kernelILi16EZZZNS0_12_GLOBAL__N_131spherical_bessel_j0_kernel_cudaERNS_18TensorIteratorBaseEENKUlvE_clEvENKUlvE_clEvEUldE_St5arrayIPcLm2EEEEviT0_T1_: ; @_ZN2at6native29vectorized_elementwise_kernelILi16EZZZNS0_12_GLOBAL__N_131spherical_bessel_j0_kernel_cudaERNS_18TensorIteratorBaseEENKUlvE_clEvENKUlvE_clEvEUldE_St5arrayIPcLm2EEEEviT0_T1_
; %bb.0:
	s_clause 0x1
	s_load_dword s0, s[4:5], 0x0
	s_load_dwordx4 s[8:11], s[4:5], 0x8
	s_lshl_b32 s2, s6, 10
	s_waitcnt lgkmcnt(0)
	s_sub_i32 s6, s0, s2
	s_mov_b32 s0, -1
	s_cmpk_gt_i32 s6, 0x3ff
	s_cbranch_scc0 .LBB0_42
; %bb.1:
	s_ashr_i32 s3, s2, 31
	v_lshlrev_b32_e32 v15, 5, v0
	s_lshl_b64 s[4:5], s[2:3], 3
	v_mov_b32_e32 v3, 0
	s_add_u32 s0, s10, s4
	s_addc_u32 s1, s11, s5
	v_mov_b32_e32 v1, 0
	s_clause 0x1
	global_load_dwordx4 v[9:12], v15, s[0:1]
	global_load_dwordx4 v[5:8], v15, s[0:1] offset:16
	v_mov_b32_e32 v4, 0
	v_mov_b32_e32 v2, 0
	s_mov_b32 s1, exec_lo
	s_waitcnt vmcnt(1)
	v_cmpx_neq_f64_e64 0x7ff00000, |v[9:10]|
	s_cbranch_execz .LBB0_11
; %bb.2:
	s_mov_b32 s3, exec_lo
	v_cmpx_nlt_f64_e64 |v[9:10]|, 0.5
	s_xor_b32 s3, exec_lo, s3
	s_cbranch_execz .LBB0_8
; %bb.3:
	v_cmp_ngt_f64_e64 s0, 0x41d00000, |v[9:10]|
                                        ; implicit-def: $vgpr16
                                        ; implicit-def: $vgpr1_vgpr2
                                        ; implicit-def: $vgpr13_vgpr14
	s_and_saveexec_b32 s7, s0
	s_xor_b32 s0, exec_lo, s7
	s_cbranch_execz .LBB0_5
; %bb.4:
	v_ldexp_f64 v[1:2], |v[9:10]|, 0xffffff80
	v_cmp_le_f64_e64 vcc_lo, 0x7b000000, |v[9:10]|
	v_trig_preop_f64 v[13:14], |v[9:10]|, 0
	v_and_b32_e32 v16, 0x7fffffff, v10
	v_trig_preop_f64 v[26:27], |v[9:10]|, 2
	v_mov_b32_e32 v34, 0
	s_mov_b32 s12, 0x54442d18
	s_mov_b32 s13, 0x3ff921fb
	;; [unrolled: 1-line block ×4, first 2 shown]
	v_cndmask_b32_e32 v2, v16, v2, vcc_lo
	v_cndmask_b32_e32 v1, v9, v1, vcc_lo
	v_trig_preop_f64 v[16:17], |v[9:10]|, 1
	v_mul_f64 v[18:19], v[13:14], v[1:2]
	v_mul_f64 v[32:33], v[26:27], v[1:2]
	v_mul_f64 v[20:21], v[16:17], v[1:2]
	v_fma_f64 v[13:14], v[13:14], v[1:2], -v[18:19]
	v_fma_f64 v[16:17], v[16:17], v[1:2], -v[20:21]
	;; [unrolled: 1-line block ×3, first 2 shown]
	v_add_f64 v[22:23], v[20:21], v[13:14]
	v_add_f64 v[24:25], v[22:23], -v[20:21]
	v_add_f64 v[30:31], v[18:19], v[22:23]
	v_add_f64 v[28:29], v[22:23], -v[24:25]
	v_add_f64 v[13:14], v[13:14], -v[24:25]
	v_ldexp_f64 v[24:25], v[30:31], -2
	v_add_f64 v[18:19], v[30:31], -v[18:19]
	v_add_f64 v[20:21], v[20:21], -v[28:29]
	v_add_f64 v[28:29], v[32:33], v[16:17]
	v_cmp_neq_f64_e64 vcc_lo, 0x7ff00000, |v[24:25]|
	v_add_f64 v[18:19], v[22:23], -v[18:19]
	v_add_f64 v[13:14], v[13:14], v[20:21]
	v_fract_f64_e32 v[20:21], v[24:25]
	v_add_f64 v[22:23], v[28:29], v[13:14]
	v_ldexp_f64 v[20:21], v[20:21], 2
	v_add_f64 v[24:25], v[18:19], v[22:23]
	v_cndmask_b32_e32 v21, 0, v21, vcc_lo
	v_cndmask_b32_e32 v20, 0, v20, vcc_lo
	v_add_f64 v[30:31], v[24:25], v[20:21]
	v_add_f64 v[18:19], v[24:25], -v[18:19]
	v_cmp_gt_f64_e32 vcc_lo, 0, v[30:31]
	v_add_f64 v[30:31], v[28:29], -v[32:33]
	v_cndmask_b32_e64 v35, 0, 0x40100000, vcc_lo
	v_add_f64 v[39:40], v[28:29], -v[30:31]
	v_add_f64 v[16:17], v[16:17], -v[30:31]
	v_add_f64 v[20:21], v[20:21], v[34:35]
	v_add_f64 v[35:36], v[22:23], -v[28:29]
	v_add_f64 v[30:31], v[32:33], -v[39:40]
	v_add_f64 v[37:38], v[24:25], v[20:21]
	v_add_f64 v[41:42], v[22:23], -v[35:36]
	v_add_f64 v[13:14], v[13:14], -v[35:36]
	v_add_f64 v[16:17], v[16:17], v[30:31]
	v_cvt_i32_f64_e32 v37, v[37:38]
	v_add_f64 v[28:29], v[28:29], -v[41:42]
	v_cvt_f64_i32_e32 v[35:36], v37
	v_add_f64 v[13:14], v[13:14], v[28:29]
	v_add_f64 v[20:21], v[20:21], -v[35:36]
	v_add_f64 v[13:14], v[16:17], v[13:14]
	v_add_f64 v[16:17], v[22:23], -v[18:19]
	v_add_f64 v[26:27], v[24:25], v[20:21]
	v_add_f64 v[1:2], v[1:2], v[13:14]
	v_add_f64 v[13:14], v[26:27], -v[20:21]
	v_cmp_le_f64_e32 vcc_lo, 0.5, v[26:27]
	v_add_f64 v[1:2], v[16:17], v[1:2]
	v_add_f64 v[13:14], v[24:25], -v[13:14]
	v_cndmask_b32_e64 v35, 0, 0x3ff00000, vcc_lo
	v_add_co_ci_u32_e64 v16, null, 0, v37, vcc_lo
	v_add_f64 v[1:2], v[1:2], v[13:14]
	v_add_f64 v[13:14], v[26:27], -v[34:35]
	v_add_f64 v[17:18], v[13:14], v[1:2]
	v_mul_f64 v[19:20], v[17:18], s[12:13]
	v_add_f64 v[13:14], v[17:18], -v[13:14]
	v_fma_f64 v[21:22], v[17:18], s[12:13], -v[19:20]
	v_add_f64 v[1:2], v[1:2], -v[13:14]
	v_fma_f64 v[13:14], v[17:18], s[14:15], v[21:22]
	v_fma_f64 v[13:14], v[1:2], s[12:13], v[13:14]
	v_add_f64 v[1:2], v[19:20], v[13:14]
	v_add_f64 v[17:18], v[1:2], -v[19:20]
	v_add_f64 v[13:14], v[13:14], -v[17:18]
.LBB0_5:
	s_andn2_saveexec_b32 s0, s0
	s_cbranch_execz .LBB0_7
; %bb.6:
	s_mov_b32 s12, 0x6dc9c883
	s_mov_b32 s13, 0x3fe45f30
	;; [unrolled: 1-line block ×3, first 2 shown]
	v_mul_f64 v[1:2], |v[9:10]|, s[12:13]
	s_mov_b32 s12, 0x54442d18
	s_mov_b32 s13, 0xbff921fb
	;; [unrolled: 1-line block ×3, first 2 shown]
	v_rndne_f64_e32 v[16:17], v[1:2]
	v_fma_f64 v[1:2], v[16:17], s[12:13], |v[9:10]|
	v_mul_f64 v[13:14], v[16:17], s[14:15]
	s_mov_b32 s12, 0x252049c0
	s_mov_b32 s13, 0xb97b839a
	v_fma_f64 v[20:21], v[16:17], s[14:15], v[1:2]
	v_add_f64 v[18:19], v[1:2], v[13:14]
	s_mov_b32 s15, 0x3c91a626
	v_add_f64 v[1:2], v[1:2], -v[18:19]
	v_add_f64 v[18:19], v[18:19], -v[20:21]
	v_add_f64 v[1:2], v[1:2], v[13:14]
	v_fma_f64 v[13:14], v[16:17], s[14:15], v[13:14]
	v_add_f64 v[1:2], v[18:19], v[1:2]
	v_add_f64 v[1:2], v[1:2], -v[13:14]
	v_fma_f64 v[13:14], v[16:17], s[12:13], v[1:2]
	v_cvt_i32_f64_e32 v16, v[16:17]
	v_add_f64 v[1:2], v[20:21], v[13:14]
	v_add_f64 v[18:19], v[1:2], -v[20:21]
	v_add_f64 v[13:14], v[13:14], -v[18:19]
.LBB0_7:
	s_or_b32 exec_lo, exec_lo, s0
	v_mul_f64 v[17:18], v[1:2], v[1:2]
	s_mov_b32 s12, 0xb42fdfa7
	s_mov_b32 s14, 0xf9a43bb8
	;; [unrolled: 1-line block ×6, first 2 shown]
	v_mul_f64 v[27:28], v[13:14], 0.5
	v_cmp_class_f64_e64 s0, v[9:10], 0x1f8
	v_fma_f64 v[19:20], v[17:18], s[14:15], s[12:13]
	s_mov_b32 s12, 0x9037ab78
	s_mov_b32 s14, 0x46cc5e42
	;; [unrolled: 1-line block ×4, first 2 shown]
	v_mul_f64 v[23:24], v[17:18], 0.5
	v_fma_f64 v[21:22], v[17:18], s[14:15], s[12:13]
	s_mov_b32 s12, 0xa17f65f6
	s_mov_b32 s14, 0x19e83e5c
	;; [unrolled: 1-line block ×4, first 2 shown]
	v_mul_f64 v[29:30], v[1:2], -v[17:18]
	v_fma_f64 v[19:20], v[17:18], v[19:20], s[16:17]
	v_add_f64 v[25:26], -v[23:24], 1.0
	v_fma_f64 v[21:22], v[17:18], v[21:22], s[12:13]
	s_mov_b32 s12, 0x19f4ec90
	s_mov_b32 s13, 0x3efa01a0
	v_fma_f64 v[19:20], v[17:18], v[19:20], s[14:15]
	s_mov_b32 s14, 0x11110bb3
	s_mov_b32 s15, 0x3f811111
	v_add_f64 v[31:32], -v[25:26], 1.0
	v_fma_f64 v[21:22], v[17:18], v[21:22], s[12:13]
	s_mov_b32 s12, 0x16c16967
	s_mov_b32 s13, 0xbf56c16c
	v_fma_f64 v[19:20], v[17:18], v[19:20], s[14:15]
	v_add_f64 v[23:24], v[31:32], -v[23:24]
	v_fma_f64 v[21:22], v[17:18], v[21:22], s[12:13]
	s_mov_b32 s13, 0x3fa55555
	s_mov_b32 s12, 0x55555555
	v_fma_f64 v[19:20], v[29:30], v[19:20], v[27:28]
	v_mul_f64 v[27:28], v[17:18], v[17:18]
	v_fma_f64 v[23:24], v[1:2], -v[13:14], v[23:24]
	v_fma_f64 v[21:22], v[17:18], v[21:22], s[12:13]
	s_mov_b32 s13, 0xbfc55555
	v_fma_f64 v[13:14], v[17:18], v[19:20], -v[13:14]
	v_fma_f64 v[17:18], v[27:28], v[21:22], v[23:24]
	v_fma_f64 v[13:14], v[29:30], s[12:13], v[13:14]
	v_add_f64 v[17:18], v[25:26], v[17:18]
	v_add_f64 v[1:2], v[1:2], -v[13:14]
	v_and_b32_e32 v13, 1, v16
	v_cmp_eq_u32_e32 vcc_lo, 0, v13
	v_lshlrev_b32_e32 v13, 30, v16
	v_xor_b32_e32 v13, v13, v10
	v_and_b32_e32 v13, 0x80000000, v13
	v_cndmask_b32_e32 v2, v18, v2, vcc_lo
	v_cndmask_b32_e32 v1, v17, v1, vcc_lo
	v_xor_b32_e32 v2, v2, v13
	v_cndmask_b32_e64 v1, 0, v1, s0
	v_cndmask_b32_e64 v2, 0x7ff80000, v2, s0
	v_div_scale_f64 v[13:14], null, v[9:10], v[9:10], v[1:2]
	v_rcp_f64_e32 v[16:17], v[13:14]
	v_fma_f64 v[18:19], -v[13:14], v[16:17], 1.0
	v_fma_f64 v[16:17], v[16:17], v[18:19], v[16:17]
	v_fma_f64 v[18:19], -v[13:14], v[16:17], 1.0
	v_fma_f64 v[16:17], v[16:17], v[18:19], v[16:17]
	v_div_scale_f64 v[18:19], vcc_lo, v[1:2], v[9:10], v[1:2]
	v_mul_f64 v[20:21], v[18:19], v[16:17]
	v_fma_f64 v[13:14], -v[13:14], v[20:21], v[18:19]
	v_div_fmas_f64 v[13:14], v[13:14], v[16:17], v[20:21]
	v_div_fixup_f64 v[1:2], v[13:14], v[9:10], v[1:2]
.LBB0_8:
	s_andn2_saveexec_b32 s0, s3
	s_cbranch_execz .LBB0_10
; %bb.9:
	v_mul_f64 v[1:2], v[9:10], v[9:10]
	s_mov_b32 s12, 0x67f544e4
	s_mov_b32 s14, 0x13a86d09
	;; [unrolled: 1-line block ×4, first 2 shown]
	v_fma_f64 v[9:10], v[1:2], s[14:15], s[12:13]
	s_mov_b32 s12, 0xa556c734
	s_mov_b32 s13, 0x3ec71de3
	v_fma_f64 v[9:10], v[1:2], v[9:10], s[12:13]
	s_mov_b32 s12, 0x1a01a01a
	s_mov_b32 s13, 0xbf2a01a0
	;; [unrolled: 3-line block ×4, first 2 shown]
	v_fma_f64 v[9:10], v[1:2], v[9:10], s[12:13]
	v_fma_f64 v[1:2], v[1:2], v[9:10], 1.0
.LBB0_10:
	s_or_b32 exec_lo, exec_lo, s0
.LBB0_11:
	s_or_b32 exec_lo, exec_lo, s1
	s_mov_b32 s1, exec_lo
	v_cmpx_neq_f64_e64 0x7ff00000, |v[11:12]|
	s_cbranch_execz .LBB0_21
; %bb.12:
	s_mov_b32 s3, exec_lo
	v_cmpx_nlt_f64_e64 |v[11:12]|, 0.5
	s_xor_b32 s3, exec_lo, s3
	s_cbranch_execz .LBB0_18
; %bb.13:
	v_cmp_ngt_f64_e64 s0, 0x41d00000, |v[11:12]|
                                        ; implicit-def: $vgpr13
                                        ; implicit-def: $vgpr3_vgpr4
                                        ; implicit-def: $vgpr9_vgpr10
	s_and_saveexec_b32 s7, s0
	s_xor_b32 s0, exec_lo, s7
	s_cbranch_execz .LBB0_15
; %bb.14:
	v_ldexp_f64 v[3:4], |v[11:12]|, 0xffffff80
	v_cmp_le_f64_e64 vcc_lo, 0x7b000000, |v[11:12]|
	v_trig_preop_f64 v[9:10], |v[11:12]|, 0
	v_and_b32_e32 v13, 0x7fffffff, v12
	v_trig_preop_f64 v[24:25], |v[11:12]|, 2
	v_mov_b32_e32 v32, 0
	s_mov_b32 s12, 0x54442d18
	s_mov_b32 s13, 0x3ff921fb
	;; [unrolled: 1-line block ×4, first 2 shown]
	v_cndmask_b32_e32 v4, v13, v4, vcc_lo
	v_cndmask_b32_e32 v3, v11, v3, vcc_lo
	v_trig_preop_f64 v[13:14], |v[11:12]|, 1
	v_mul_f64 v[16:17], v[9:10], v[3:4]
	v_mul_f64 v[30:31], v[24:25], v[3:4]
	v_mul_f64 v[18:19], v[13:14], v[3:4]
	v_fma_f64 v[9:10], v[9:10], v[3:4], -v[16:17]
	v_fma_f64 v[13:14], v[13:14], v[3:4], -v[18:19]
	;; [unrolled: 1-line block ×3, first 2 shown]
	v_add_f64 v[20:21], v[18:19], v[9:10]
	v_add_f64 v[22:23], v[20:21], -v[18:19]
	v_add_f64 v[28:29], v[16:17], v[20:21]
	v_add_f64 v[26:27], v[20:21], -v[22:23]
	v_add_f64 v[9:10], v[9:10], -v[22:23]
	v_ldexp_f64 v[22:23], v[28:29], -2
	v_add_f64 v[16:17], v[28:29], -v[16:17]
	v_add_f64 v[18:19], v[18:19], -v[26:27]
	v_add_f64 v[26:27], v[30:31], v[13:14]
	v_cmp_neq_f64_e64 vcc_lo, 0x7ff00000, |v[22:23]|
	v_add_f64 v[16:17], v[20:21], -v[16:17]
	v_add_f64 v[9:10], v[9:10], v[18:19]
	v_fract_f64_e32 v[18:19], v[22:23]
	v_add_f64 v[20:21], v[26:27], v[9:10]
	v_ldexp_f64 v[18:19], v[18:19], 2
	v_add_f64 v[22:23], v[16:17], v[20:21]
	v_cndmask_b32_e32 v19, 0, v19, vcc_lo
	v_cndmask_b32_e32 v18, 0, v18, vcc_lo
	v_add_f64 v[28:29], v[22:23], v[18:19]
	v_add_f64 v[16:17], v[22:23], -v[16:17]
	v_cmp_gt_f64_e32 vcc_lo, 0, v[28:29]
	v_add_f64 v[28:29], v[26:27], -v[30:31]
	v_cndmask_b32_e64 v33, 0, 0x40100000, vcc_lo
	v_add_f64 v[37:38], v[26:27], -v[28:29]
	v_add_f64 v[13:14], v[13:14], -v[28:29]
	v_add_f64 v[18:19], v[18:19], v[32:33]
	v_add_f64 v[33:34], v[20:21], -v[26:27]
	v_add_f64 v[28:29], v[30:31], -v[37:38]
	v_add_f64 v[35:36], v[22:23], v[18:19]
	;; [unrolled: 3-line block ×3, first 2 shown]
	v_cvt_i32_f64_e32 v35, v[35:36]
	v_add_f64 v[26:27], v[26:27], -v[39:40]
	v_cvt_f64_i32_e32 v[33:34], v35
	v_add_f64 v[9:10], v[9:10], v[26:27]
	v_add_f64 v[18:19], v[18:19], -v[33:34]
	v_add_f64 v[9:10], v[13:14], v[9:10]
	v_add_f64 v[13:14], v[20:21], -v[16:17]
	v_add_f64 v[24:25], v[22:23], v[18:19]
	v_add_f64 v[3:4], v[3:4], v[9:10]
	v_add_f64 v[9:10], v[24:25], -v[18:19]
	v_cmp_le_f64_e32 vcc_lo, 0.5, v[24:25]
	v_add_f64 v[3:4], v[13:14], v[3:4]
	v_add_f64 v[9:10], v[22:23], -v[9:10]
	v_cndmask_b32_e64 v33, 0, 0x3ff00000, vcc_lo
	v_add_co_ci_u32_e64 v13, null, 0, v35, vcc_lo
	v_add_f64 v[3:4], v[3:4], v[9:10]
	v_add_f64 v[9:10], v[24:25], -v[32:33]
	v_add_f64 v[16:17], v[9:10], v[3:4]
	v_mul_f64 v[18:19], v[16:17], s[12:13]
	v_add_f64 v[9:10], v[16:17], -v[9:10]
	v_fma_f64 v[20:21], v[16:17], s[12:13], -v[18:19]
	v_add_f64 v[3:4], v[3:4], -v[9:10]
	v_fma_f64 v[9:10], v[16:17], s[14:15], v[20:21]
	v_fma_f64 v[9:10], v[3:4], s[12:13], v[9:10]
	v_add_f64 v[3:4], v[18:19], v[9:10]
	v_add_f64 v[16:17], v[3:4], -v[18:19]
	v_add_f64 v[9:10], v[9:10], -v[16:17]
.LBB0_15:
	s_andn2_saveexec_b32 s0, s0
	s_cbranch_execz .LBB0_17
; %bb.16:
	s_mov_b32 s12, 0x6dc9c883
	s_mov_b32 s13, 0x3fe45f30
	;; [unrolled: 1-line block ×3, first 2 shown]
	v_mul_f64 v[3:4], |v[11:12]|, s[12:13]
	s_mov_b32 s12, 0x54442d18
	s_mov_b32 s13, 0xbff921fb
	;; [unrolled: 1-line block ×3, first 2 shown]
	v_rndne_f64_e32 v[13:14], v[3:4]
	v_fma_f64 v[3:4], v[13:14], s[12:13], |v[11:12]|
	v_mul_f64 v[9:10], v[13:14], s[14:15]
	s_mov_b32 s12, 0x252049c0
	s_mov_b32 s13, 0xb97b839a
	v_fma_f64 v[18:19], v[13:14], s[14:15], v[3:4]
	v_add_f64 v[16:17], v[3:4], v[9:10]
	s_mov_b32 s15, 0x3c91a626
	v_add_f64 v[3:4], v[3:4], -v[16:17]
	v_add_f64 v[16:17], v[16:17], -v[18:19]
	v_add_f64 v[3:4], v[3:4], v[9:10]
	v_fma_f64 v[9:10], v[13:14], s[14:15], v[9:10]
	v_add_f64 v[3:4], v[16:17], v[3:4]
	v_add_f64 v[3:4], v[3:4], -v[9:10]
	v_fma_f64 v[9:10], v[13:14], s[12:13], v[3:4]
	v_cvt_i32_f64_e32 v13, v[13:14]
	v_add_f64 v[3:4], v[18:19], v[9:10]
	v_add_f64 v[16:17], v[3:4], -v[18:19]
	v_add_f64 v[9:10], v[9:10], -v[16:17]
.LBB0_17:
	s_or_b32 exec_lo, exec_lo, s0
	v_mul_f64 v[16:17], v[3:4], v[3:4]
	s_mov_b32 s12, 0xb42fdfa7
	s_mov_b32 s14, 0xf9a43bb8
	;; [unrolled: 1-line block ×6, first 2 shown]
	v_mul_f64 v[26:27], v[9:10], 0.5
	v_cmp_class_f64_e64 s0, v[11:12], 0x1f8
	v_fma_f64 v[18:19], v[16:17], s[14:15], s[12:13]
	s_mov_b32 s12, 0x9037ab78
	s_mov_b32 s14, 0x46cc5e42
	;; [unrolled: 1-line block ×4, first 2 shown]
	v_mul_f64 v[22:23], v[16:17], 0.5
	v_fma_f64 v[20:21], v[16:17], s[14:15], s[12:13]
	s_mov_b32 s12, 0xa17f65f6
	s_mov_b32 s14, 0x19e83e5c
	;; [unrolled: 1-line block ×4, first 2 shown]
	v_mul_f64 v[28:29], v[3:4], -v[16:17]
	v_fma_f64 v[18:19], v[16:17], v[18:19], s[16:17]
	v_add_f64 v[24:25], -v[22:23], 1.0
	v_fma_f64 v[20:21], v[16:17], v[20:21], s[12:13]
	s_mov_b32 s12, 0x19f4ec90
	s_mov_b32 s13, 0x3efa01a0
	v_fma_f64 v[18:19], v[16:17], v[18:19], s[14:15]
	s_mov_b32 s14, 0x11110bb3
	s_mov_b32 s15, 0x3f811111
	v_add_f64 v[30:31], -v[24:25], 1.0
	v_fma_f64 v[20:21], v[16:17], v[20:21], s[12:13]
	s_mov_b32 s12, 0x16c16967
	s_mov_b32 s13, 0xbf56c16c
	v_fma_f64 v[18:19], v[16:17], v[18:19], s[14:15]
	v_add_f64 v[22:23], v[30:31], -v[22:23]
	v_fma_f64 v[20:21], v[16:17], v[20:21], s[12:13]
	s_mov_b32 s13, 0x3fa55555
	s_mov_b32 s12, 0x55555555
	v_fma_f64 v[18:19], v[28:29], v[18:19], v[26:27]
	v_mul_f64 v[26:27], v[16:17], v[16:17]
	v_fma_f64 v[22:23], v[3:4], -v[9:10], v[22:23]
	v_fma_f64 v[20:21], v[16:17], v[20:21], s[12:13]
	s_mov_b32 s13, 0xbfc55555
	v_fma_f64 v[9:10], v[16:17], v[18:19], -v[9:10]
	v_fma_f64 v[16:17], v[26:27], v[20:21], v[22:23]
	v_fma_f64 v[9:10], v[28:29], s[12:13], v[9:10]
	v_add_f64 v[16:17], v[24:25], v[16:17]
	v_add_f64 v[3:4], v[3:4], -v[9:10]
	v_and_b32_e32 v9, 1, v13
	v_cmp_eq_u32_e32 vcc_lo, 0, v9
	v_lshlrev_b32_e32 v9, 30, v13
	v_xor_b32_e32 v9, v9, v12
	v_and_b32_e32 v9, 0x80000000, v9
	v_cndmask_b32_e32 v4, v17, v4, vcc_lo
	v_cndmask_b32_e32 v3, v16, v3, vcc_lo
	v_xor_b32_e32 v4, v4, v9
	v_cndmask_b32_e64 v3, 0, v3, s0
	v_cndmask_b32_e64 v4, 0x7ff80000, v4, s0
	v_div_scale_f64 v[9:10], null, v[11:12], v[11:12], v[3:4]
	v_rcp_f64_e32 v[13:14], v[9:10]
	v_fma_f64 v[16:17], -v[9:10], v[13:14], 1.0
	v_fma_f64 v[13:14], v[13:14], v[16:17], v[13:14]
	v_fma_f64 v[16:17], -v[9:10], v[13:14], 1.0
	v_fma_f64 v[13:14], v[13:14], v[16:17], v[13:14]
	v_div_scale_f64 v[16:17], vcc_lo, v[3:4], v[11:12], v[3:4]
	v_mul_f64 v[18:19], v[16:17], v[13:14]
	v_fma_f64 v[9:10], -v[9:10], v[18:19], v[16:17]
	v_div_fmas_f64 v[9:10], v[9:10], v[13:14], v[18:19]
	v_div_fixup_f64 v[3:4], v[9:10], v[11:12], v[3:4]
                                        ; implicit-def: $vgpr11_vgpr12
.LBB0_18:
	s_andn2_saveexec_b32 s0, s3
	s_cbranch_execz .LBB0_20
; %bb.19:
	v_mul_f64 v[3:4], v[11:12], v[11:12]
	s_mov_b32 s12, 0x67f544e4
	s_mov_b32 s14, 0x13a86d09
	;; [unrolled: 1-line block ×4, first 2 shown]
	v_fma_f64 v[9:10], v[3:4], s[14:15], s[12:13]
	s_mov_b32 s12, 0xa556c734
	s_mov_b32 s13, 0x3ec71de3
	v_fma_f64 v[9:10], v[3:4], v[9:10], s[12:13]
	s_mov_b32 s12, 0x1a01a01a
	s_mov_b32 s13, 0xbf2a01a0
	;; [unrolled: 3-line block ×4, first 2 shown]
	v_fma_f64 v[9:10], v[3:4], v[9:10], s[12:13]
	v_fma_f64 v[3:4], v[3:4], v[9:10], 1.0
.LBB0_20:
	s_or_b32 exec_lo, exec_lo, s0
.LBB0_21:
	s_or_b32 exec_lo, exec_lo, s1
	v_mov_b32_e32 v11, 0
	v_mov_b32_e32 v9, 0
	;; [unrolled: 1-line block ×4, first 2 shown]
	s_mov_b32 s1, exec_lo
	s_waitcnt vmcnt(0)
	v_cmpx_neq_f64_e64 0x7ff00000, |v[5:6]|
	s_cbranch_execz .LBB0_31
; %bb.22:
	s_mov_b32 s3, exec_lo
	v_cmpx_nlt_f64_e64 |v[5:6]|, 0.5
	s_xor_b32 s3, exec_lo, s3
	s_cbranch_execz .LBB0_28
; %bb.23:
	v_cmp_ngt_f64_e64 s0, 0x41d00000, |v[5:6]|
                                        ; implicit-def: $vgpr16
                                        ; implicit-def: $vgpr9_vgpr10
                                        ; implicit-def: $vgpr13_vgpr14
	s_and_saveexec_b32 s7, s0
	s_xor_b32 s0, exec_lo, s7
	s_cbranch_execz .LBB0_25
; %bb.24:
	v_ldexp_f64 v[9:10], |v[5:6]|, 0xffffff80
	v_cmp_le_f64_e64 vcc_lo, 0x7b000000, |v[5:6]|
	v_trig_preop_f64 v[13:14], |v[5:6]|, 0
	v_and_b32_e32 v16, 0x7fffffff, v6
	v_trig_preop_f64 v[26:27], |v[5:6]|, 2
	v_mov_b32_e32 v34, 0
	s_mov_b32 s12, 0x54442d18
	s_mov_b32 s13, 0x3ff921fb
	;; [unrolled: 1-line block ×4, first 2 shown]
	v_cndmask_b32_e32 v10, v16, v10, vcc_lo
	v_cndmask_b32_e32 v9, v5, v9, vcc_lo
	v_trig_preop_f64 v[16:17], |v[5:6]|, 1
	v_mul_f64 v[18:19], v[13:14], v[9:10]
	v_mul_f64 v[32:33], v[26:27], v[9:10]
	;; [unrolled: 1-line block ×3, first 2 shown]
	v_fma_f64 v[13:14], v[13:14], v[9:10], -v[18:19]
	v_fma_f64 v[16:17], v[16:17], v[9:10], -v[20:21]
	;; [unrolled: 1-line block ×3, first 2 shown]
	v_add_f64 v[22:23], v[20:21], v[13:14]
	v_add_f64 v[24:25], v[22:23], -v[20:21]
	v_add_f64 v[30:31], v[18:19], v[22:23]
	v_add_f64 v[28:29], v[22:23], -v[24:25]
	v_add_f64 v[13:14], v[13:14], -v[24:25]
	v_ldexp_f64 v[24:25], v[30:31], -2
	v_add_f64 v[18:19], v[30:31], -v[18:19]
	v_add_f64 v[20:21], v[20:21], -v[28:29]
	v_add_f64 v[28:29], v[32:33], v[16:17]
	v_cmp_neq_f64_e64 vcc_lo, 0x7ff00000, |v[24:25]|
	v_add_f64 v[18:19], v[22:23], -v[18:19]
	v_add_f64 v[13:14], v[13:14], v[20:21]
	v_fract_f64_e32 v[20:21], v[24:25]
	v_add_f64 v[22:23], v[28:29], v[13:14]
	v_ldexp_f64 v[20:21], v[20:21], 2
	v_add_f64 v[24:25], v[18:19], v[22:23]
	v_cndmask_b32_e32 v21, 0, v21, vcc_lo
	v_cndmask_b32_e32 v20, 0, v20, vcc_lo
	v_add_f64 v[30:31], v[24:25], v[20:21]
	v_add_f64 v[18:19], v[24:25], -v[18:19]
	v_cmp_gt_f64_e32 vcc_lo, 0, v[30:31]
	v_add_f64 v[30:31], v[28:29], -v[32:33]
	v_cndmask_b32_e64 v35, 0, 0x40100000, vcc_lo
	v_add_f64 v[39:40], v[28:29], -v[30:31]
	v_add_f64 v[16:17], v[16:17], -v[30:31]
	v_add_f64 v[20:21], v[20:21], v[34:35]
	v_add_f64 v[35:36], v[22:23], -v[28:29]
	v_add_f64 v[30:31], v[32:33], -v[39:40]
	v_add_f64 v[37:38], v[24:25], v[20:21]
	;; [unrolled: 3-line block ×3, first 2 shown]
	v_cvt_i32_f64_e32 v37, v[37:38]
	v_add_f64 v[28:29], v[28:29], -v[41:42]
	v_cvt_f64_i32_e32 v[35:36], v37
	v_add_f64 v[13:14], v[13:14], v[28:29]
	v_add_f64 v[20:21], v[20:21], -v[35:36]
	v_add_f64 v[13:14], v[16:17], v[13:14]
	v_add_f64 v[16:17], v[22:23], -v[18:19]
	v_add_f64 v[26:27], v[24:25], v[20:21]
	v_add_f64 v[9:10], v[9:10], v[13:14]
	v_add_f64 v[13:14], v[26:27], -v[20:21]
	v_cmp_le_f64_e32 vcc_lo, 0.5, v[26:27]
	v_add_f64 v[9:10], v[16:17], v[9:10]
	v_add_f64 v[13:14], v[24:25], -v[13:14]
	v_cndmask_b32_e64 v35, 0, 0x3ff00000, vcc_lo
	v_add_co_ci_u32_e64 v16, null, 0, v37, vcc_lo
	v_add_f64 v[9:10], v[9:10], v[13:14]
	v_add_f64 v[13:14], v[26:27], -v[34:35]
	v_add_f64 v[17:18], v[13:14], v[9:10]
	v_mul_f64 v[19:20], v[17:18], s[12:13]
	v_add_f64 v[13:14], v[17:18], -v[13:14]
	v_fma_f64 v[21:22], v[17:18], s[12:13], -v[19:20]
	v_add_f64 v[9:10], v[9:10], -v[13:14]
	v_fma_f64 v[13:14], v[17:18], s[14:15], v[21:22]
	v_fma_f64 v[13:14], v[9:10], s[12:13], v[13:14]
	v_add_f64 v[9:10], v[19:20], v[13:14]
	v_add_f64 v[17:18], v[9:10], -v[19:20]
	v_add_f64 v[13:14], v[13:14], -v[17:18]
.LBB0_25:
	s_andn2_saveexec_b32 s0, s0
	s_cbranch_execz .LBB0_27
; %bb.26:
	s_mov_b32 s12, 0x6dc9c883
	s_mov_b32 s13, 0x3fe45f30
	;; [unrolled: 1-line block ×3, first 2 shown]
	v_mul_f64 v[9:10], |v[5:6]|, s[12:13]
	s_mov_b32 s12, 0x54442d18
	s_mov_b32 s13, 0xbff921fb
	;; [unrolled: 1-line block ×3, first 2 shown]
	v_rndne_f64_e32 v[16:17], v[9:10]
	v_fma_f64 v[9:10], v[16:17], s[12:13], |v[5:6]|
	v_mul_f64 v[13:14], v[16:17], s[14:15]
	s_mov_b32 s12, 0x252049c0
	s_mov_b32 s13, 0xb97b839a
	v_fma_f64 v[20:21], v[16:17], s[14:15], v[9:10]
	v_add_f64 v[18:19], v[9:10], v[13:14]
	s_mov_b32 s15, 0x3c91a626
	v_add_f64 v[9:10], v[9:10], -v[18:19]
	v_add_f64 v[18:19], v[18:19], -v[20:21]
	v_add_f64 v[9:10], v[9:10], v[13:14]
	v_fma_f64 v[13:14], v[16:17], s[14:15], v[13:14]
	v_add_f64 v[9:10], v[18:19], v[9:10]
	v_add_f64 v[9:10], v[9:10], -v[13:14]
	v_fma_f64 v[13:14], v[16:17], s[12:13], v[9:10]
	v_cvt_i32_f64_e32 v16, v[16:17]
	v_add_f64 v[9:10], v[20:21], v[13:14]
	v_add_f64 v[18:19], v[9:10], -v[20:21]
	v_add_f64 v[13:14], v[13:14], -v[18:19]
.LBB0_27:
	s_or_b32 exec_lo, exec_lo, s0
	v_mul_f64 v[17:18], v[9:10], v[9:10]
	s_mov_b32 s12, 0xb42fdfa7
	s_mov_b32 s14, 0xf9a43bb8
	;; [unrolled: 1-line block ×6, first 2 shown]
	v_mul_f64 v[27:28], v[13:14], 0.5
	v_cmp_class_f64_e64 s0, v[5:6], 0x1f8
	v_fma_f64 v[19:20], v[17:18], s[14:15], s[12:13]
	s_mov_b32 s12, 0x9037ab78
	s_mov_b32 s14, 0x46cc5e42
	;; [unrolled: 1-line block ×4, first 2 shown]
	v_mul_f64 v[23:24], v[17:18], 0.5
	v_fma_f64 v[21:22], v[17:18], s[14:15], s[12:13]
	s_mov_b32 s12, 0xa17f65f6
	s_mov_b32 s14, 0x19e83e5c
	;; [unrolled: 1-line block ×4, first 2 shown]
	v_mul_f64 v[29:30], v[9:10], -v[17:18]
	v_fma_f64 v[19:20], v[17:18], v[19:20], s[16:17]
	v_add_f64 v[25:26], -v[23:24], 1.0
	v_fma_f64 v[21:22], v[17:18], v[21:22], s[12:13]
	s_mov_b32 s12, 0x19f4ec90
	s_mov_b32 s13, 0x3efa01a0
	v_fma_f64 v[19:20], v[17:18], v[19:20], s[14:15]
	s_mov_b32 s14, 0x11110bb3
	s_mov_b32 s15, 0x3f811111
	v_add_f64 v[31:32], -v[25:26], 1.0
	v_fma_f64 v[21:22], v[17:18], v[21:22], s[12:13]
	s_mov_b32 s12, 0x16c16967
	s_mov_b32 s13, 0xbf56c16c
	v_fma_f64 v[19:20], v[17:18], v[19:20], s[14:15]
	v_add_f64 v[23:24], v[31:32], -v[23:24]
	v_fma_f64 v[21:22], v[17:18], v[21:22], s[12:13]
	s_mov_b32 s13, 0x3fa55555
	s_mov_b32 s12, 0x55555555
	v_fma_f64 v[19:20], v[29:30], v[19:20], v[27:28]
	v_mul_f64 v[27:28], v[17:18], v[17:18]
	v_fma_f64 v[23:24], v[9:10], -v[13:14], v[23:24]
	v_fma_f64 v[21:22], v[17:18], v[21:22], s[12:13]
	s_mov_b32 s13, 0xbfc55555
	v_fma_f64 v[13:14], v[17:18], v[19:20], -v[13:14]
	v_fma_f64 v[17:18], v[27:28], v[21:22], v[23:24]
	v_fma_f64 v[13:14], v[29:30], s[12:13], v[13:14]
	v_add_f64 v[17:18], v[25:26], v[17:18]
	v_add_f64 v[9:10], v[9:10], -v[13:14]
	v_and_b32_e32 v13, 1, v16
	v_cmp_eq_u32_e32 vcc_lo, 0, v13
	v_lshlrev_b32_e32 v13, 30, v16
	v_xor_b32_e32 v13, v13, v6
	v_and_b32_e32 v13, 0x80000000, v13
	v_cndmask_b32_e32 v10, v18, v10, vcc_lo
	v_cndmask_b32_e32 v9, v17, v9, vcc_lo
	v_xor_b32_e32 v10, v10, v13
	v_cndmask_b32_e64 v9, 0, v9, s0
	v_cndmask_b32_e64 v10, 0x7ff80000, v10, s0
	v_div_scale_f64 v[13:14], null, v[5:6], v[5:6], v[9:10]
	v_rcp_f64_e32 v[16:17], v[13:14]
	v_fma_f64 v[18:19], -v[13:14], v[16:17], 1.0
	v_fma_f64 v[16:17], v[16:17], v[18:19], v[16:17]
	v_fma_f64 v[18:19], -v[13:14], v[16:17], 1.0
	v_fma_f64 v[16:17], v[16:17], v[18:19], v[16:17]
	v_div_scale_f64 v[18:19], vcc_lo, v[9:10], v[5:6], v[9:10]
	v_mul_f64 v[20:21], v[18:19], v[16:17]
	v_fma_f64 v[13:14], -v[13:14], v[20:21], v[18:19]
	v_div_fmas_f64 v[13:14], v[13:14], v[16:17], v[20:21]
	v_div_fixup_f64 v[9:10], v[13:14], v[5:6], v[9:10]
.LBB0_28:
	s_andn2_saveexec_b32 s0, s3
	s_cbranch_execz .LBB0_30
; %bb.29:
	v_mul_f64 v[5:6], v[5:6], v[5:6]
	s_mov_b32 s12, 0x67f544e4
	s_mov_b32 s14, 0x13a86d09
	;; [unrolled: 1-line block ×4, first 2 shown]
	v_fma_f64 v[9:10], v[5:6], s[14:15], s[12:13]
	s_mov_b32 s12, 0xa556c734
	s_mov_b32 s13, 0x3ec71de3
	v_fma_f64 v[9:10], v[5:6], v[9:10], s[12:13]
	s_mov_b32 s12, 0x1a01a01a
	s_mov_b32 s13, 0xbf2a01a0
	;; [unrolled: 3-line block ×4, first 2 shown]
	v_fma_f64 v[9:10], v[5:6], v[9:10], s[12:13]
	v_fma_f64 v[9:10], v[5:6], v[9:10], 1.0
.LBB0_30:
	s_or_b32 exec_lo, exec_lo, s0
.LBB0_31:
	s_or_b32 exec_lo, exec_lo, s1
	s_mov_b32 s1, exec_lo
	v_cmpx_neq_f64_e64 0x7ff00000, |v[7:8]|
	s_cbranch_execz .LBB0_41
; %bb.32:
	s_mov_b32 s3, exec_lo
	v_cmpx_nlt_f64_e64 |v[7:8]|, 0.5
	s_xor_b32 s3, exec_lo, s3
	s_cbranch_execz .LBB0_38
; %bb.33:
	v_cmp_ngt_f64_e64 s0, 0x41d00000, |v[7:8]|
                                        ; implicit-def: $vgpr13
                                        ; implicit-def: $vgpr5_vgpr6
                                        ; implicit-def: $vgpr11_vgpr12
	s_and_saveexec_b32 s7, s0
	s_xor_b32 s0, exec_lo, s7
	s_cbranch_execz .LBB0_35
; %bb.34:
	v_ldexp_f64 v[5:6], |v[7:8]|, 0xffffff80
	v_cmp_le_f64_e64 vcc_lo, 0x7b000000, |v[7:8]|
	v_trig_preop_f64 v[11:12], |v[7:8]|, 0
	v_and_b32_e32 v13, 0x7fffffff, v8
	v_trig_preop_f64 v[24:25], |v[7:8]|, 2
	v_mov_b32_e32 v32, 0
	s_mov_b32 s12, 0x54442d18
	s_mov_b32 s13, 0x3ff921fb
	;; [unrolled: 1-line block ×4, first 2 shown]
	v_cndmask_b32_e32 v6, v13, v6, vcc_lo
	v_cndmask_b32_e32 v5, v7, v5, vcc_lo
	v_trig_preop_f64 v[13:14], |v[7:8]|, 1
	v_mul_f64 v[16:17], v[11:12], v[5:6]
	v_mul_f64 v[30:31], v[24:25], v[5:6]
	;; [unrolled: 1-line block ×3, first 2 shown]
	v_fma_f64 v[11:12], v[11:12], v[5:6], -v[16:17]
	v_fma_f64 v[13:14], v[13:14], v[5:6], -v[18:19]
	v_fma_f64 v[5:6], v[24:25], v[5:6], -v[30:31]
	v_add_f64 v[20:21], v[18:19], v[11:12]
	v_add_f64 v[22:23], v[20:21], -v[18:19]
	v_add_f64 v[28:29], v[16:17], v[20:21]
	v_add_f64 v[26:27], v[20:21], -v[22:23]
	v_add_f64 v[11:12], v[11:12], -v[22:23]
	v_ldexp_f64 v[22:23], v[28:29], -2
	v_add_f64 v[16:17], v[28:29], -v[16:17]
	v_add_f64 v[18:19], v[18:19], -v[26:27]
	v_add_f64 v[26:27], v[30:31], v[13:14]
	v_cmp_neq_f64_e64 vcc_lo, 0x7ff00000, |v[22:23]|
	v_add_f64 v[16:17], v[20:21], -v[16:17]
	v_add_f64 v[11:12], v[11:12], v[18:19]
	v_fract_f64_e32 v[18:19], v[22:23]
	v_add_f64 v[20:21], v[26:27], v[11:12]
	v_ldexp_f64 v[18:19], v[18:19], 2
	v_add_f64 v[22:23], v[16:17], v[20:21]
	v_cndmask_b32_e32 v19, 0, v19, vcc_lo
	v_cndmask_b32_e32 v18, 0, v18, vcc_lo
	v_add_f64 v[28:29], v[22:23], v[18:19]
	v_add_f64 v[16:17], v[22:23], -v[16:17]
	v_cmp_gt_f64_e32 vcc_lo, 0, v[28:29]
	v_add_f64 v[28:29], v[26:27], -v[30:31]
	v_cndmask_b32_e64 v33, 0, 0x40100000, vcc_lo
	v_add_f64 v[37:38], v[26:27], -v[28:29]
	v_add_f64 v[13:14], v[13:14], -v[28:29]
	v_add_f64 v[18:19], v[18:19], v[32:33]
	v_add_f64 v[33:34], v[20:21], -v[26:27]
	v_add_f64 v[28:29], v[30:31], -v[37:38]
	v_add_f64 v[35:36], v[22:23], v[18:19]
	;; [unrolled: 3-line block ×3, first 2 shown]
	v_cvt_i32_f64_e32 v35, v[35:36]
	v_add_f64 v[26:27], v[26:27], -v[39:40]
	v_cvt_f64_i32_e32 v[33:34], v35
	v_add_f64 v[11:12], v[11:12], v[26:27]
	v_add_f64 v[18:19], v[18:19], -v[33:34]
	v_add_f64 v[11:12], v[13:14], v[11:12]
	v_add_f64 v[13:14], v[20:21], -v[16:17]
	v_add_f64 v[24:25], v[22:23], v[18:19]
	v_add_f64 v[5:6], v[5:6], v[11:12]
	v_add_f64 v[11:12], v[24:25], -v[18:19]
	v_cmp_le_f64_e32 vcc_lo, 0.5, v[24:25]
	v_add_f64 v[5:6], v[13:14], v[5:6]
	v_add_f64 v[11:12], v[22:23], -v[11:12]
	v_cndmask_b32_e64 v33, 0, 0x3ff00000, vcc_lo
	v_add_co_ci_u32_e64 v13, null, 0, v35, vcc_lo
	v_add_f64 v[5:6], v[5:6], v[11:12]
	v_add_f64 v[11:12], v[24:25], -v[32:33]
	v_add_f64 v[16:17], v[11:12], v[5:6]
	v_mul_f64 v[18:19], v[16:17], s[12:13]
	v_add_f64 v[11:12], v[16:17], -v[11:12]
	v_fma_f64 v[20:21], v[16:17], s[12:13], -v[18:19]
	v_add_f64 v[5:6], v[5:6], -v[11:12]
	v_fma_f64 v[11:12], v[16:17], s[14:15], v[20:21]
	v_fma_f64 v[11:12], v[5:6], s[12:13], v[11:12]
	v_add_f64 v[5:6], v[18:19], v[11:12]
	v_add_f64 v[16:17], v[5:6], -v[18:19]
	v_add_f64 v[11:12], v[11:12], -v[16:17]
.LBB0_35:
	s_andn2_saveexec_b32 s0, s0
	s_cbranch_execz .LBB0_37
; %bb.36:
	s_mov_b32 s12, 0x6dc9c883
	s_mov_b32 s13, 0x3fe45f30
	;; [unrolled: 1-line block ×3, first 2 shown]
	v_mul_f64 v[5:6], |v[7:8]|, s[12:13]
	s_mov_b32 s12, 0x54442d18
	s_mov_b32 s13, 0xbff921fb
	;; [unrolled: 1-line block ×3, first 2 shown]
	v_rndne_f64_e32 v[13:14], v[5:6]
	v_fma_f64 v[5:6], v[13:14], s[12:13], |v[7:8]|
	v_mul_f64 v[11:12], v[13:14], s[14:15]
	s_mov_b32 s12, 0x252049c0
	s_mov_b32 s13, 0xb97b839a
	v_fma_f64 v[18:19], v[13:14], s[14:15], v[5:6]
	v_add_f64 v[16:17], v[5:6], v[11:12]
	s_mov_b32 s15, 0x3c91a626
	v_add_f64 v[5:6], v[5:6], -v[16:17]
	v_add_f64 v[16:17], v[16:17], -v[18:19]
	v_add_f64 v[5:6], v[5:6], v[11:12]
	v_fma_f64 v[11:12], v[13:14], s[14:15], v[11:12]
	v_add_f64 v[5:6], v[16:17], v[5:6]
	v_add_f64 v[5:6], v[5:6], -v[11:12]
	v_fma_f64 v[11:12], v[13:14], s[12:13], v[5:6]
	v_cvt_i32_f64_e32 v13, v[13:14]
	v_add_f64 v[5:6], v[18:19], v[11:12]
	v_add_f64 v[16:17], v[5:6], -v[18:19]
	v_add_f64 v[11:12], v[11:12], -v[16:17]
.LBB0_37:
	s_or_b32 exec_lo, exec_lo, s0
	v_mul_f64 v[16:17], v[5:6], v[5:6]
	s_mov_b32 s12, 0xb42fdfa7
	s_mov_b32 s14, 0xf9a43bb8
	;; [unrolled: 1-line block ×6, first 2 shown]
	v_mul_f64 v[26:27], v[11:12], 0.5
	v_cmp_class_f64_e64 s0, v[7:8], 0x1f8
	v_fma_f64 v[18:19], v[16:17], s[14:15], s[12:13]
	s_mov_b32 s12, 0x9037ab78
	s_mov_b32 s14, 0x46cc5e42
	;; [unrolled: 1-line block ×4, first 2 shown]
	v_mul_f64 v[22:23], v[16:17], 0.5
	v_fma_f64 v[20:21], v[16:17], s[14:15], s[12:13]
	s_mov_b32 s12, 0xa17f65f6
	s_mov_b32 s14, 0x19e83e5c
	;; [unrolled: 1-line block ×4, first 2 shown]
	v_mul_f64 v[28:29], v[5:6], -v[16:17]
	v_fma_f64 v[18:19], v[16:17], v[18:19], s[16:17]
	v_add_f64 v[24:25], -v[22:23], 1.0
	v_fma_f64 v[20:21], v[16:17], v[20:21], s[12:13]
	s_mov_b32 s12, 0x19f4ec90
	s_mov_b32 s13, 0x3efa01a0
	v_fma_f64 v[18:19], v[16:17], v[18:19], s[14:15]
	s_mov_b32 s14, 0x11110bb3
	s_mov_b32 s15, 0x3f811111
	v_add_f64 v[30:31], -v[24:25], 1.0
	v_fma_f64 v[20:21], v[16:17], v[20:21], s[12:13]
	s_mov_b32 s12, 0x16c16967
	s_mov_b32 s13, 0xbf56c16c
	v_fma_f64 v[18:19], v[16:17], v[18:19], s[14:15]
	v_add_f64 v[22:23], v[30:31], -v[22:23]
	v_fma_f64 v[20:21], v[16:17], v[20:21], s[12:13]
	s_mov_b32 s13, 0x3fa55555
	s_mov_b32 s12, 0x55555555
	v_fma_f64 v[18:19], v[28:29], v[18:19], v[26:27]
	v_mul_f64 v[26:27], v[16:17], v[16:17]
	v_fma_f64 v[22:23], v[5:6], -v[11:12], v[22:23]
	v_fma_f64 v[20:21], v[16:17], v[20:21], s[12:13]
	s_mov_b32 s13, 0xbfc55555
	v_fma_f64 v[11:12], v[16:17], v[18:19], -v[11:12]
	v_fma_f64 v[16:17], v[26:27], v[20:21], v[22:23]
	v_fma_f64 v[11:12], v[28:29], s[12:13], v[11:12]
	v_add_f64 v[16:17], v[24:25], v[16:17]
	v_add_f64 v[5:6], v[5:6], -v[11:12]
	v_and_b32_e32 v11, 1, v13
	v_cmp_eq_u32_e32 vcc_lo, 0, v11
	v_lshlrev_b32_e32 v11, 30, v13
	v_xor_b32_e32 v11, v11, v8
	v_and_b32_e32 v11, 0x80000000, v11
	v_cndmask_b32_e32 v6, v17, v6, vcc_lo
	v_cndmask_b32_e32 v5, v16, v5, vcc_lo
	v_xor_b32_e32 v6, v6, v11
	v_cndmask_b32_e64 v5, 0, v5, s0
	v_cndmask_b32_e64 v6, 0x7ff80000, v6, s0
	v_div_scale_f64 v[11:12], null, v[7:8], v[7:8], v[5:6]
	v_rcp_f64_e32 v[13:14], v[11:12]
	v_fma_f64 v[16:17], -v[11:12], v[13:14], 1.0
	v_fma_f64 v[13:14], v[13:14], v[16:17], v[13:14]
	v_fma_f64 v[16:17], -v[11:12], v[13:14], 1.0
	v_fma_f64 v[13:14], v[13:14], v[16:17], v[13:14]
	v_div_scale_f64 v[16:17], vcc_lo, v[5:6], v[7:8], v[5:6]
	v_mul_f64 v[18:19], v[16:17], v[13:14]
	v_fma_f64 v[11:12], -v[11:12], v[18:19], v[16:17]
	v_div_fmas_f64 v[11:12], v[11:12], v[13:14], v[18:19]
	v_div_fixup_f64 v[11:12], v[11:12], v[7:8], v[5:6]
                                        ; implicit-def: $vgpr7_vgpr8
.LBB0_38:
	s_andn2_saveexec_b32 s0, s3
	s_cbranch_execz .LBB0_40
; %bb.39:
	v_mul_f64 v[5:6], v[7:8], v[7:8]
	s_mov_b32 s12, 0x67f544e4
	s_mov_b32 s14, 0x13a86d09
	s_mov_b32 s13, 0xbe5ae645
	s_mov_b32 s15, 0x3de61246
	v_fma_f64 v[7:8], v[5:6], s[14:15], s[12:13]
	s_mov_b32 s12, 0xa556c734
	s_mov_b32 s13, 0x3ec71de3
	v_fma_f64 v[7:8], v[5:6], v[7:8], s[12:13]
	s_mov_b32 s12, 0x1a01a01a
	s_mov_b32 s13, 0xbf2a01a0
	;; [unrolled: 3-line block ×4, first 2 shown]
	v_fma_f64 v[7:8], v[5:6], v[7:8], s[12:13]
	v_fma_f64 v[11:12], v[5:6], v[7:8], 1.0
.LBB0_40:
	s_or_b32 exec_lo, exec_lo, s0
.LBB0_41:
	s_or_b32 exec_lo, exec_lo, s1
	s_add_u32 s4, s8, s4
	s_addc_u32 s5, s9, s5
	s_mov_b32 s0, 0
	global_store_dwordx4 v15, v[1:4], s[4:5]
	global_store_dwordx4 v15, v[9:12], s[4:5] offset:16
.LBB0_42:
	s_and_b32 vcc_lo, exec_lo, s0
	s_cbranch_vccz .LBB0_93
; %bb.43:
	v_mov_b32_e32 v14, 0
	v_mov_b32_e32 v16, 0
	v_cmp_gt_i32_e64 s0, s6, v0
	v_mov_b32_e32 v15, 0
	v_or_b32_e32 v1, s2, v0
	v_or_b32_e32 v18, 0x100, v0
	v_mov_b32_e32 v17, 0
	v_mov_b32_e32 v4, v0
	s_and_saveexec_b32 s1, s0
	s_cbranch_execz .LBB0_45
; %bb.44:
	v_mov_b32_e32 v2, 0
	v_or_b32_e32 v4, 0x100, v0
	v_lshlrev_b64 v[2:3], 3, v[1:2]
	v_add_co_u32 v2, vcc_lo, s10, v2
	v_add_co_ci_u32_e64 v3, null, s11, v3, vcc_lo
	global_load_dwordx2 v[16:17], v[2:3], off
.LBB0_45:
	s_or_b32 exec_lo, exec_lo, s1
	s_mov_b32 s1, exec_lo
	v_cmpx_gt_i32_e64 s6, v4
	s_cbranch_execz .LBB0_47
; %bb.46:
	v_add_nc_u32_e32 v2, s2, v4
	v_mov_b32_e32 v3, 0
	v_add_nc_u32_e32 v4, 0x100, v4
	v_lshlrev_b64 v[2:3], 3, v[2:3]
	v_add_co_u32 v2, vcc_lo, s10, v2
	v_add_co_ci_u32_e64 v3, null, s11, v3, vcc_lo
	global_load_dwordx2 v[14:15], v[2:3], off
.LBB0_47:
	s_or_b32 exec_lo, exec_lo, s1
	v_mov_b32_e32 v2, 0
	v_mov_b32_e32 v6, 0
	;; [unrolled: 1-line block ×4, first 2 shown]
	s_mov_b32 s1, exec_lo
	v_cmpx_gt_i32_e64 s6, v4
	s_cbranch_execz .LBB0_49
; %bb.48:
	v_add_nc_u32_e32 v5, s2, v4
	v_mov_b32_e32 v6, 0
	v_add_nc_u32_e32 v4, 0x100, v4
	v_lshlrev_b64 v[5:6], 3, v[5:6]
	v_add_co_u32 v5, vcc_lo, s10, v5
	v_add_co_ci_u32_e64 v6, null, s11, v6, vcc_lo
	global_load_dwordx2 v[6:7], v[5:6], off
.LBB0_49:
	s_or_b32 exec_lo, exec_lo, s1
	s_mov_b32 s1, exec_lo
	v_cmpx_gt_i32_e64 s6, v4
	s_cbranch_execz .LBB0_51
; %bb.50:
	v_add_nc_u32_e32 v2, s2, v4
	v_mov_b32_e32 v3, 0
	v_lshlrev_b64 v[2:3], 3, v[2:3]
	v_add_co_u32 v2, vcc_lo, s10, v2
	v_add_co_ci_u32_e64 v3, null, s11, v3, vcc_lo
	global_load_dwordx2 v[2:3], v[2:3], off
.LBB0_51:
	s_or_b32 exec_lo, exec_lo, s1
	v_mov_b32_e32 v4, 0
	v_mov_b32_e32 v5, v4
	;; [unrolled: 1-line block ×8, first 2 shown]
	s_and_saveexec_b32 s3, s0
	s_cbranch_execz .LBB0_63
; %bb.52:
	v_mov_b32_e32 v4, 0
	v_mov_b32_e32 v5, 0
	s_mov_b32 s4, exec_lo
	s_waitcnt vmcnt(0)
	v_cmpx_neq_f64_e64 0x7ff00000, |v[16:17]|
	s_cbranch_execz .LBB0_62
; %bb.53:
	s_mov_b32 s5, exec_lo
                                        ; implicit-def: $vgpr4_vgpr5
	v_cmpx_nlt_f64_e64 |v[16:17]|, 0.5
	s_xor_b32 s5, exec_lo, s5
	s_cbranch_execz .LBB0_59
; %bb.54:
	v_cmp_ngt_f64_e64 s1, 0x41d00000, |v[16:17]|
                                        ; implicit-def: $vgpr10
                                        ; implicit-def: $vgpr4_vgpr5
                                        ; implicit-def: $vgpr8_vgpr9
	s_and_saveexec_b32 s7, s1
	s_xor_b32 s1, exec_lo, s7
	s_cbranch_execz .LBB0_56
; %bb.55:
	v_ldexp_f64 v[4:5], |v[16:17]|, 0xffffff80
	v_cmp_le_f64_e64 vcc_lo, 0x7b000000, |v[16:17]|
	v_trig_preop_f64 v[8:9], |v[16:17]|, 0
	v_and_b32_e32 v10, 0x7fffffff, v17
	v_trig_preop_f64 v[25:26], |v[16:17]|, 2
	v_mov_b32_e32 v33, 0
	s_mov_b32 s10, 0x54442d18
	s_mov_b32 s11, 0x3ff921fb
	;; [unrolled: 1-line block ×4, first 2 shown]
	v_cndmask_b32_e32 v5, v10, v5, vcc_lo
	v_cndmask_b32_e32 v4, v16, v4, vcc_lo
	v_trig_preop_f64 v[10:11], |v[16:17]|, 1
	v_mul_f64 v[12:13], v[8:9], v[4:5]
	v_mul_f64 v[31:32], v[25:26], v[4:5]
	;; [unrolled: 1-line block ×3, first 2 shown]
	v_fma_f64 v[8:9], v[8:9], v[4:5], -v[12:13]
	v_fma_f64 v[10:11], v[10:11], v[4:5], -v[19:20]
	;; [unrolled: 1-line block ×3, first 2 shown]
	v_add_f64 v[21:22], v[19:20], v[8:9]
	v_add_f64 v[23:24], v[21:22], -v[19:20]
	v_add_f64 v[29:30], v[12:13], v[21:22]
	v_add_f64 v[27:28], v[21:22], -v[23:24]
	v_add_f64 v[8:9], v[8:9], -v[23:24]
	v_ldexp_f64 v[23:24], v[29:30], -2
	v_add_f64 v[12:13], v[29:30], -v[12:13]
	v_add_f64 v[19:20], v[19:20], -v[27:28]
	v_add_f64 v[27:28], v[31:32], v[10:11]
	v_cmp_neq_f64_e64 vcc_lo, 0x7ff00000, |v[23:24]|
	v_add_f64 v[12:13], v[21:22], -v[12:13]
	v_add_f64 v[8:9], v[8:9], v[19:20]
	v_fract_f64_e32 v[19:20], v[23:24]
	v_add_f64 v[21:22], v[27:28], v[8:9]
	v_ldexp_f64 v[19:20], v[19:20], 2
	v_add_f64 v[23:24], v[12:13], v[21:22]
	v_cndmask_b32_e32 v20, 0, v20, vcc_lo
	v_cndmask_b32_e32 v19, 0, v19, vcc_lo
	v_add_f64 v[29:30], v[23:24], v[19:20]
	v_add_f64 v[12:13], v[23:24], -v[12:13]
	v_cmp_gt_f64_e32 vcc_lo, 0, v[29:30]
	v_add_f64 v[29:30], v[27:28], -v[31:32]
	v_cndmask_b32_e64 v34, 0, 0x40100000, vcc_lo
	v_add_f64 v[38:39], v[27:28], -v[29:30]
	v_add_f64 v[10:11], v[10:11], -v[29:30]
	v_add_f64 v[19:20], v[19:20], v[33:34]
	v_add_f64 v[34:35], v[21:22], -v[27:28]
	v_add_f64 v[29:30], v[31:32], -v[38:39]
	v_add_f64 v[36:37], v[23:24], v[19:20]
	;; [unrolled: 3-line block ×3, first 2 shown]
	v_cvt_i32_f64_e32 v36, v[36:37]
	v_add_f64 v[27:28], v[27:28], -v[40:41]
	v_cvt_f64_i32_e32 v[34:35], v36
	v_add_f64 v[8:9], v[8:9], v[27:28]
	v_add_f64 v[19:20], v[19:20], -v[34:35]
	v_add_f64 v[8:9], v[10:11], v[8:9]
	v_add_f64 v[10:11], v[21:22], -v[12:13]
	v_add_f64 v[25:26], v[23:24], v[19:20]
	v_add_f64 v[4:5], v[4:5], v[8:9]
	v_add_f64 v[8:9], v[25:26], -v[19:20]
	v_cmp_le_f64_e32 vcc_lo, 0.5, v[25:26]
	v_add_f64 v[4:5], v[10:11], v[4:5]
	v_add_f64 v[8:9], v[23:24], -v[8:9]
	v_cndmask_b32_e64 v34, 0, 0x3ff00000, vcc_lo
	v_add_co_ci_u32_e64 v10, null, 0, v36, vcc_lo
	v_add_f64 v[4:5], v[4:5], v[8:9]
	v_add_f64 v[8:9], v[25:26], -v[33:34]
	v_add_f64 v[11:12], v[8:9], v[4:5]
	v_mul_f64 v[19:20], v[11:12], s[10:11]
	v_add_f64 v[8:9], v[11:12], -v[8:9]
	v_fma_f64 v[21:22], v[11:12], s[10:11], -v[19:20]
	v_add_f64 v[4:5], v[4:5], -v[8:9]
	v_fma_f64 v[8:9], v[11:12], s[12:13], v[21:22]
	v_fma_f64 v[8:9], v[4:5], s[10:11], v[8:9]
	v_add_f64 v[4:5], v[19:20], v[8:9]
	v_add_f64 v[11:12], v[4:5], -v[19:20]
	v_add_f64 v[8:9], v[8:9], -v[11:12]
.LBB0_56:
	s_andn2_saveexec_b32 s1, s1
	s_cbranch_execz .LBB0_58
; %bb.57:
	s_mov_b32 s10, 0x6dc9c883
	s_mov_b32 s11, 0x3fe45f30
	s_mov_b32 s13, 0xbc91a626
	v_mul_f64 v[4:5], |v[16:17]|, s[10:11]
	s_mov_b32 s10, 0x54442d18
	s_mov_b32 s11, 0xbff921fb
	;; [unrolled: 1-line block ×3, first 2 shown]
	v_rndne_f64_e32 v[10:11], v[4:5]
	v_fma_f64 v[4:5], v[10:11], s[10:11], |v[16:17]|
	v_mul_f64 v[8:9], v[10:11], s[12:13]
	s_mov_b32 s10, 0x252049c0
	s_mov_b32 s11, 0xb97b839a
	v_fma_f64 v[19:20], v[10:11], s[12:13], v[4:5]
	v_add_f64 v[12:13], v[4:5], v[8:9]
	s_mov_b32 s13, 0x3c91a626
	v_add_f64 v[4:5], v[4:5], -v[12:13]
	v_add_f64 v[12:13], v[12:13], -v[19:20]
	v_add_f64 v[4:5], v[4:5], v[8:9]
	v_fma_f64 v[8:9], v[10:11], s[12:13], v[8:9]
	v_add_f64 v[4:5], v[12:13], v[4:5]
	v_add_f64 v[4:5], v[4:5], -v[8:9]
	v_fma_f64 v[8:9], v[10:11], s[10:11], v[4:5]
	v_cvt_i32_f64_e32 v10, v[10:11]
	v_add_f64 v[4:5], v[19:20], v[8:9]
	v_add_f64 v[12:13], v[4:5], -v[19:20]
	v_add_f64 v[8:9], v[8:9], -v[12:13]
.LBB0_58:
	s_or_b32 exec_lo, exec_lo, s1
	v_mul_f64 v[11:12], v[4:5], v[4:5]
	s_mov_b32 s10, 0xb42fdfa7
	s_mov_b32 s12, 0xf9a43bb8
	;; [unrolled: 1-line block ×6, first 2 shown]
	v_mul_f64 v[27:28], v[8:9], 0.5
	v_cmp_class_f64_e64 s1, v[16:17], 0x1f8
	v_fma_f64 v[19:20], v[11:12], s[12:13], s[10:11]
	s_mov_b32 s10, 0x9037ab78
	s_mov_b32 s12, 0x46cc5e42
	;; [unrolled: 1-line block ×4, first 2 shown]
	v_mul_f64 v[23:24], v[11:12], 0.5
	v_fma_f64 v[21:22], v[11:12], s[12:13], s[10:11]
	s_mov_b32 s10, 0xa17f65f6
	s_mov_b32 s12, 0x19e83e5c
	;; [unrolled: 1-line block ×4, first 2 shown]
	v_mul_f64 v[29:30], v[4:5], -v[11:12]
	v_fma_f64 v[19:20], v[11:12], v[19:20], s[14:15]
	v_add_f64 v[25:26], -v[23:24], 1.0
	v_fma_f64 v[21:22], v[11:12], v[21:22], s[10:11]
	s_mov_b32 s10, 0x19f4ec90
	s_mov_b32 s11, 0x3efa01a0
	v_fma_f64 v[19:20], v[11:12], v[19:20], s[12:13]
	s_mov_b32 s12, 0x11110bb3
	s_mov_b32 s13, 0x3f811111
	v_add_f64 v[31:32], -v[25:26], 1.0
	v_fma_f64 v[21:22], v[11:12], v[21:22], s[10:11]
	s_mov_b32 s10, 0x16c16967
	s_mov_b32 s11, 0xbf56c16c
	v_fma_f64 v[19:20], v[11:12], v[19:20], s[12:13]
	v_add_f64 v[23:24], v[31:32], -v[23:24]
	v_fma_f64 v[21:22], v[11:12], v[21:22], s[10:11]
	s_mov_b32 s11, 0x3fa55555
	s_mov_b32 s10, 0x55555555
	v_fma_f64 v[19:20], v[29:30], v[19:20], v[27:28]
	v_mul_f64 v[27:28], v[11:12], v[11:12]
	v_fma_f64 v[23:24], v[4:5], -v[8:9], v[23:24]
	v_fma_f64 v[21:22], v[11:12], v[21:22], s[10:11]
	s_mov_b32 s11, 0xbfc55555
	v_fma_f64 v[8:9], v[11:12], v[19:20], -v[8:9]
	v_fma_f64 v[11:12], v[27:28], v[21:22], v[23:24]
	v_fma_f64 v[8:9], v[29:30], s[10:11], v[8:9]
	v_add_f64 v[11:12], v[25:26], v[11:12]
	v_add_f64 v[4:5], v[4:5], -v[8:9]
	v_and_b32_e32 v8, 1, v10
	v_cmp_eq_u32_e32 vcc_lo, 0, v8
	v_lshlrev_b32_e32 v8, 30, v10
	v_xor_b32_e32 v8, v8, v17
	v_and_b32_e32 v8, 0x80000000, v8
	v_cndmask_b32_e32 v5, v12, v5, vcc_lo
	v_cndmask_b32_e32 v4, v11, v4, vcc_lo
	v_xor_b32_e32 v5, v5, v8
	v_cndmask_b32_e64 v4, 0, v4, s1
	v_cndmask_b32_e64 v5, 0x7ff80000, v5, s1
	v_div_scale_f64 v[8:9], null, v[16:17], v[16:17], v[4:5]
	v_rcp_f64_e32 v[10:11], v[8:9]
	v_fma_f64 v[12:13], -v[8:9], v[10:11], 1.0
	v_fma_f64 v[10:11], v[10:11], v[12:13], v[10:11]
	v_fma_f64 v[12:13], -v[8:9], v[10:11], 1.0
	v_fma_f64 v[10:11], v[10:11], v[12:13], v[10:11]
	v_div_scale_f64 v[12:13], vcc_lo, v[4:5], v[16:17], v[4:5]
	v_mul_f64 v[19:20], v[12:13], v[10:11]
	v_fma_f64 v[8:9], -v[8:9], v[19:20], v[12:13]
	v_div_fmas_f64 v[8:9], v[8:9], v[10:11], v[19:20]
	v_div_fixup_f64 v[4:5], v[8:9], v[16:17], v[4:5]
                                        ; implicit-def: $vgpr16_vgpr17
.LBB0_59:
	s_andn2_saveexec_b32 s1, s5
	s_cbranch_execz .LBB0_61
; %bb.60:
	v_mul_f64 v[4:5], v[16:17], v[16:17]
	s_mov_b32 s10, 0x67f544e4
	s_mov_b32 s12, 0x13a86d09
	;; [unrolled: 1-line block ×4, first 2 shown]
	v_fma_f64 v[8:9], v[4:5], s[12:13], s[10:11]
	s_mov_b32 s10, 0xa556c734
	s_mov_b32 s11, 0x3ec71de3
	v_fma_f64 v[8:9], v[4:5], v[8:9], s[10:11]
	s_mov_b32 s10, 0x1a01a01a
	s_mov_b32 s11, 0xbf2a01a0
	;; [unrolled: 3-line block ×4, first 2 shown]
	v_fma_f64 v[8:9], v[4:5], v[8:9], s[10:11]
	v_fma_f64 v[4:5], v[4:5], v[8:9], 1.0
.LBB0_61:
	s_or_b32 exec_lo, exec_lo, s1
.LBB0_62:
	s_or_b32 exec_lo, exec_lo, s4
	v_mov_b32_e32 v12, 0
	v_mov_b32_e32 v13, v12
	;; [unrolled: 1-line block ×6, first 2 shown]
.LBB0_63:
	s_or_b32 exec_lo, exec_lo, s3
	s_mov_b32 s3, exec_lo
	v_cmpx_gt_i32_e64 s6, v18
	s_cbranch_execz .LBB0_75
; %bb.64:
	v_mov_b32_e32 v12, 0
	v_mov_b32_e32 v13, 0
	s_mov_b32 s4, exec_lo
	s_waitcnt vmcnt(0)
	v_cmpx_neq_f64_e64 0x7ff00000, |v[14:15]|
	s_cbranch_execz .LBB0_74
; %bb.65:
	s_mov_b32 s5, exec_lo
	v_cmpx_nlt_f64_e64 |v[14:15]|, 0.5
	s_xor_b32 s5, exec_lo, s5
                                        ; implicit-def: $vgpr12_vgpr13
	s_cbranch_execz .LBB0_71
; %bb.66:
	v_cmp_ngt_f64_e64 s1, 0x41d00000, |v[14:15]|
                                        ; implicit-def: $vgpr19
                                        ; implicit-def: $vgpr12_vgpr13
                                        ; implicit-def: $vgpr16_vgpr17
	s_and_saveexec_b32 s7, s1
	s_xor_b32 s1, exec_lo, s7
	s_cbranch_execz .LBB0_68
; %bb.67:
	v_ldexp_f64 v[12:13], |v[14:15]|, 0xffffff80
	v_cmp_le_f64_e64 vcc_lo, 0x7b000000, |v[14:15]|
	v_trig_preop_f64 v[16:17], |v[14:15]|, 0
	v_and_b32_e32 v19, 0x7fffffff, v15
	v_trig_preop_f64 v[29:30], |v[14:15]|, 2
	v_mov_b32_e32 v37, 0
	s_mov_b32 s10, 0x54442d18
	s_mov_b32 s11, 0x3ff921fb
	;; [unrolled: 1-line block ×4, first 2 shown]
	v_cndmask_b32_e32 v13, v19, v13, vcc_lo
	v_cndmask_b32_e32 v12, v14, v12, vcc_lo
	v_trig_preop_f64 v[19:20], |v[14:15]|, 1
	v_mul_f64 v[21:22], v[16:17], v[12:13]
	v_mul_f64 v[35:36], v[29:30], v[12:13]
	;; [unrolled: 1-line block ×3, first 2 shown]
	v_fma_f64 v[16:17], v[16:17], v[12:13], -v[21:22]
	v_fma_f64 v[19:20], v[19:20], v[12:13], -v[23:24]
	;; [unrolled: 1-line block ×3, first 2 shown]
	v_add_f64 v[25:26], v[23:24], v[16:17]
	v_add_f64 v[27:28], v[25:26], -v[23:24]
	v_add_f64 v[33:34], v[21:22], v[25:26]
	v_add_f64 v[31:32], v[25:26], -v[27:28]
	v_add_f64 v[16:17], v[16:17], -v[27:28]
	v_ldexp_f64 v[27:28], v[33:34], -2
	v_add_f64 v[21:22], v[33:34], -v[21:22]
	v_add_f64 v[23:24], v[23:24], -v[31:32]
	v_add_f64 v[31:32], v[35:36], v[19:20]
	v_cmp_neq_f64_e64 vcc_lo, 0x7ff00000, |v[27:28]|
	v_add_f64 v[21:22], v[25:26], -v[21:22]
	v_add_f64 v[16:17], v[16:17], v[23:24]
	v_fract_f64_e32 v[23:24], v[27:28]
	v_add_f64 v[25:26], v[31:32], v[16:17]
	v_ldexp_f64 v[23:24], v[23:24], 2
	v_add_f64 v[27:28], v[21:22], v[25:26]
	v_cndmask_b32_e32 v24, 0, v24, vcc_lo
	v_cndmask_b32_e32 v23, 0, v23, vcc_lo
	v_add_f64 v[33:34], v[27:28], v[23:24]
	v_add_f64 v[21:22], v[27:28], -v[21:22]
	v_cmp_gt_f64_e32 vcc_lo, 0, v[33:34]
	v_add_f64 v[33:34], v[31:32], -v[35:36]
	v_cndmask_b32_e64 v38, 0, 0x40100000, vcc_lo
	v_add_f64 v[42:43], v[31:32], -v[33:34]
	v_add_f64 v[19:20], v[19:20], -v[33:34]
	v_add_f64 v[23:24], v[23:24], v[37:38]
	v_add_f64 v[38:39], v[25:26], -v[31:32]
	v_add_f64 v[33:34], v[35:36], -v[42:43]
	v_add_f64 v[40:41], v[27:28], v[23:24]
	;; [unrolled: 3-line block ×3, first 2 shown]
	v_cvt_i32_f64_e32 v40, v[40:41]
	v_add_f64 v[31:32], v[31:32], -v[44:45]
	v_cvt_f64_i32_e32 v[38:39], v40
	v_add_f64 v[16:17], v[16:17], v[31:32]
	v_add_f64 v[23:24], v[23:24], -v[38:39]
	v_add_f64 v[16:17], v[19:20], v[16:17]
	v_add_f64 v[19:20], v[25:26], -v[21:22]
	v_add_f64 v[29:30], v[27:28], v[23:24]
	v_add_f64 v[12:13], v[12:13], v[16:17]
	v_add_f64 v[16:17], v[29:30], -v[23:24]
	v_cmp_le_f64_e32 vcc_lo, 0.5, v[29:30]
	v_add_f64 v[12:13], v[19:20], v[12:13]
	v_add_f64 v[16:17], v[27:28], -v[16:17]
	v_cndmask_b32_e64 v38, 0, 0x3ff00000, vcc_lo
	v_add_co_ci_u32_e64 v19, null, 0, v40, vcc_lo
	v_add_f64 v[12:13], v[12:13], v[16:17]
	v_add_f64 v[16:17], v[29:30], -v[37:38]
	v_add_f64 v[20:21], v[16:17], v[12:13]
	v_mul_f64 v[22:23], v[20:21], s[10:11]
	v_add_f64 v[16:17], v[20:21], -v[16:17]
	v_fma_f64 v[24:25], v[20:21], s[10:11], -v[22:23]
	v_add_f64 v[12:13], v[12:13], -v[16:17]
	v_fma_f64 v[16:17], v[20:21], s[12:13], v[24:25]
	v_fma_f64 v[16:17], v[12:13], s[10:11], v[16:17]
	v_add_f64 v[12:13], v[22:23], v[16:17]
	v_add_f64 v[20:21], v[12:13], -v[22:23]
	v_add_f64 v[16:17], v[16:17], -v[20:21]
.LBB0_68:
	s_andn2_saveexec_b32 s1, s1
	s_cbranch_execz .LBB0_70
; %bb.69:
	s_mov_b32 s10, 0x6dc9c883
	s_mov_b32 s11, 0x3fe45f30
	;; [unrolled: 1-line block ×3, first 2 shown]
	v_mul_f64 v[12:13], |v[14:15]|, s[10:11]
	s_mov_b32 s10, 0x54442d18
	s_mov_b32 s11, 0xbff921fb
	;; [unrolled: 1-line block ×3, first 2 shown]
	v_rndne_f64_e32 v[19:20], v[12:13]
	v_fma_f64 v[12:13], v[19:20], s[10:11], |v[14:15]|
	v_mul_f64 v[16:17], v[19:20], s[12:13]
	s_mov_b32 s10, 0x252049c0
	s_mov_b32 s11, 0xb97b839a
	v_fma_f64 v[23:24], v[19:20], s[12:13], v[12:13]
	v_add_f64 v[21:22], v[12:13], v[16:17]
	s_mov_b32 s13, 0x3c91a626
	v_add_f64 v[12:13], v[12:13], -v[21:22]
	v_add_f64 v[21:22], v[21:22], -v[23:24]
	v_add_f64 v[12:13], v[12:13], v[16:17]
	v_fma_f64 v[16:17], v[19:20], s[12:13], v[16:17]
	v_add_f64 v[12:13], v[21:22], v[12:13]
	v_add_f64 v[12:13], v[12:13], -v[16:17]
	v_fma_f64 v[16:17], v[19:20], s[10:11], v[12:13]
	v_cvt_i32_f64_e32 v19, v[19:20]
	v_add_f64 v[12:13], v[23:24], v[16:17]
	v_add_f64 v[21:22], v[12:13], -v[23:24]
	v_add_f64 v[16:17], v[16:17], -v[21:22]
.LBB0_70:
	s_or_b32 exec_lo, exec_lo, s1
	v_mul_f64 v[20:21], v[12:13], v[12:13]
	s_mov_b32 s10, 0xb42fdfa7
	s_mov_b32 s12, 0xf9a43bb8
	;; [unrolled: 1-line block ×6, first 2 shown]
	v_mul_f64 v[30:31], v[16:17], 0.5
	v_cmp_class_f64_e64 s1, v[14:15], 0x1f8
	v_fma_f64 v[22:23], v[20:21], s[12:13], s[10:11]
	s_mov_b32 s10, 0x9037ab78
	s_mov_b32 s12, 0x46cc5e42
	;; [unrolled: 1-line block ×4, first 2 shown]
	v_mul_f64 v[26:27], v[20:21], 0.5
	v_fma_f64 v[24:25], v[20:21], s[12:13], s[10:11]
	s_mov_b32 s10, 0xa17f65f6
	s_mov_b32 s12, 0x19e83e5c
	s_mov_b32 s11, 0xbe927e4f
	s_mov_b32 s13, 0xbf2a01a0
	v_mul_f64 v[32:33], v[12:13], -v[20:21]
	v_fma_f64 v[22:23], v[20:21], v[22:23], s[14:15]
	v_add_f64 v[28:29], -v[26:27], 1.0
	v_fma_f64 v[24:25], v[20:21], v[24:25], s[10:11]
	s_mov_b32 s10, 0x19f4ec90
	s_mov_b32 s11, 0x3efa01a0
	v_fma_f64 v[22:23], v[20:21], v[22:23], s[12:13]
	s_mov_b32 s12, 0x11110bb3
	s_mov_b32 s13, 0x3f811111
	v_add_f64 v[34:35], -v[28:29], 1.0
	v_fma_f64 v[24:25], v[20:21], v[24:25], s[10:11]
	s_mov_b32 s10, 0x16c16967
	s_mov_b32 s11, 0xbf56c16c
	v_fma_f64 v[22:23], v[20:21], v[22:23], s[12:13]
	v_add_f64 v[26:27], v[34:35], -v[26:27]
	v_fma_f64 v[24:25], v[20:21], v[24:25], s[10:11]
	s_mov_b32 s11, 0x3fa55555
	s_mov_b32 s10, 0x55555555
	v_fma_f64 v[22:23], v[32:33], v[22:23], v[30:31]
	v_mul_f64 v[30:31], v[20:21], v[20:21]
	v_fma_f64 v[26:27], v[12:13], -v[16:17], v[26:27]
	v_fma_f64 v[24:25], v[20:21], v[24:25], s[10:11]
	s_mov_b32 s11, 0xbfc55555
	v_fma_f64 v[16:17], v[20:21], v[22:23], -v[16:17]
	v_fma_f64 v[20:21], v[30:31], v[24:25], v[26:27]
	v_fma_f64 v[16:17], v[32:33], s[10:11], v[16:17]
	v_add_f64 v[20:21], v[28:29], v[20:21]
	v_add_f64 v[12:13], v[12:13], -v[16:17]
	v_and_b32_e32 v16, 1, v19
	v_cmp_eq_u32_e32 vcc_lo, 0, v16
	v_lshlrev_b32_e32 v16, 30, v19
	v_xor_b32_e32 v16, v16, v15
	v_and_b32_e32 v16, 0x80000000, v16
	v_cndmask_b32_e32 v13, v21, v13, vcc_lo
	v_cndmask_b32_e32 v12, v20, v12, vcc_lo
	v_xor_b32_e32 v13, v13, v16
	v_cndmask_b32_e64 v12, 0, v12, s1
	v_cndmask_b32_e64 v13, 0x7ff80000, v13, s1
	v_div_scale_f64 v[16:17], null, v[14:15], v[14:15], v[12:13]
	v_rcp_f64_e32 v[19:20], v[16:17]
	v_fma_f64 v[21:22], -v[16:17], v[19:20], 1.0
	v_fma_f64 v[19:20], v[19:20], v[21:22], v[19:20]
	v_fma_f64 v[21:22], -v[16:17], v[19:20], 1.0
	v_fma_f64 v[19:20], v[19:20], v[21:22], v[19:20]
	v_div_scale_f64 v[21:22], vcc_lo, v[12:13], v[14:15], v[12:13]
	v_mul_f64 v[23:24], v[21:22], v[19:20]
	v_fma_f64 v[16:17], -v[16:17], v[23:24], v[21:22]
	v_div_fmas_f64 v[16:17], v[16:17], v[19:20], v[23:24]
	v_div_fixup_f64 v[12:13], v[16:17], v[14:15], v[12:13]
                                        ; implicit-def: $vgpr14_vgpr15
.LBB0_71:
	s_andn2_saveexec_b32 s1, s5
	s_cbranch_execz .LBB0_73
; %bb.72:
	v_mul_f64 v[12:13], v[14:15], v[14:15]
	s_mov_b32 s10, 0x67f544e4
	s_mov_b32 s12, 0x13a86d09
	;; [unrolled: 1-line block ×4, first 2 shown]
	v_fma_f64 v[14:15], v[12:13], s[12:13], s[10:11]
	s_mov_b32 s10, 0xa556c734
	s_mov_b32 s11, 0x3ec71de3
	v_fma_f64 v[14:15], v[12:13], v[14:15], s[10:11]
	s_mov_b32 s10, 0x1a01a01a
	s_mov_b32 s11, 0xbf2a01a0
	;; [unrolled: 3-line block ×4, first 2 shown]
	v_fma_f64 v[14:15], v[12:13], v[14:15], s[10:11]
	v_fma_f64 v[12:13], v[12:13], v[14:15], 1.0
.LBB0_73:
	s_or_b32 exec_lo, exec_lo, s1
.LBB0_74:
	s_or_b32 exec_lo, exec_lo, s4
.LBB0_75:
	s_or_b32 exec_lo, exec_lo, s3
	s_waitcnt vmcnt(0)
	v_or_b32_e32 v14, 0x200, v0
	s_mov_b32 s3, exec_lo
	v_cmpx_gt_i32_e64 s6, v14
	s_cbranch_execz .LBB0_87
; %bb.76:
	v_mov_b32_e32 v10, 0
	v_mov_b32_e32 v11, 0
	s_mov_b32 s4, exec_lo
	v_cmpx_neq_f64_e64 0x7ff00000, |v[6:7]|
	s_cbranch_execz .LBB0_86
; %bb.77:
	s_mov_b32 s5, exec_lo
	v_cmpx_nlt_f64_e64 |v[6:7]|, 0.5
	s_xor_b32 s5, exec_lo, s5
                                        ; implicit-def: $vgpr10_vgpr11
	s_cbranch_execz .LBB0_83
; %bb.78:
	v_cmp_ngt_f64_e64 s1, 0x41d00000, |v[6:7]|
                                        ; implicit-def: $vgpr16
                                        ; implicit-def: $vgpr10_vgpr11
                                        ; implicit-def: $vgpr14_vgpr15
	s_and_saveexec_b32 s7, s1
	s_xor_b32 s1, exec_lo, s7
	s_cbranch_execz .LBB0_80
; %bb.79:
	v_ldexp_f64 v[10:11], |v[6:7]|, 0xffffff80
	v_cmp_le_f64_e64 vcc_lo, 0x7b000000, |v[6:7]|
	v_trig_preop_f64 v[14:15], |v[6:7]|, 0
	v_and_b32_e32 v16, 0x7fffffff, v7
	v_trig_preop_f64 v[27:28], |v[6:7]|, 2
	v_mov_b32_e32 v35, 0
	s_mov_b32 s10, 0x54442d18
	s_mov_b32 s11, 0x3ff921fb
	;; [unrolled: 1-line block ×4, first 2 shown]
	v_cndmask_b32_e32 v11, v16, v11, vcc_lo
	v_cndmask_b32_e32 v10, v6, v10, vcc_lo
	v_trig_preop_f64 v[16:17], |v[6:7]|, 1
	v_mul_f64 v[19:20], v[14:15], v[10:11]
	v_mul_f64 v[33:34], v[27:28], v[10:11]
	;; [unrolled: 1-line block ×3, first 2 shown]
	v_fma_f64 v[14:15], v[14:15], v[10:11], -v[19:20]
	v_fma_f64 v[16:17], v[16:17], v[10:11], -v[21:22]
	;; [unrolled: 1-line block ×3, first 2 shown]
	v_add_f64 v[23:24], v[21:22], v[14:15]
	v_add_f64 v[25:26], v[23:24], -v[21:22]
	v_add_f64 v[31:32], v[19:20], v[23:24]
	v_add_f64 v[29:30], v[23:24], -v[25:26]
	v_add_f64 v[14:15], v[14:15], -v[25:26]
	v_ldexp_f64 v[25:26], v[31:32], -2
	v_add_f64 v[19:20], v[31:32], -v[19:20]
	v_add_f64 v[21:22], v[21:22], -v[29:30]
	v_add_f64 v[29:30], v[33:34], v[16:17]
	v_cmp_neq_f64_e64 vcc_lo, 0x7ff00000, |v[25:26]|
	v_add_f64 v[19:20], v[23:24], -v[19:20]
	v_add_f64 v[14:15], v[14:15], v[21:22]
	v_fract_f64_e32 v[21:22], v[25:26]
	v_add_f64 v[23:24], v[29:30], v[14:15]
	v_ldexp_f64 v[21:22], v[21:22], 2
	v_add_f64 v[25:26], v[19:20], v[23:24]
	v_cndmask_b32_e32 v22, 0, v22, vcc_lo
	v_cndmask_b32_e32 v21, 0, v21, vcc_lo
	v_add_f64 v[31:32], v[25:26], v[21:22]
	v_add_f64 v[19:20], v[25:26], -v[19:20]
	v_cmp_gt_f64_e32 vcc_lo, 0, v[31:32]
	v_add_f64 v[31:32], v[29:30], -v[33:34]
	v_cndmask_b32_e64 v36, 0, 0x40100000, vcc_lo
	v_add_f64 v[40:41], v[29:30], -v[31:32]
	v_add_f64 v[16:17], v[16:17], -v[31:32]
	v_add_f64 v[21:22], v[21:22], v[35:36]
	v_add_f64 v[36:37], v[23:24], -v[29:30]
	v_add_f64 v[31:32], v[33:34], -v[40:41]
	v_add_f64 v[38:39], v[25:26], v[21:22]
	;; [unrolled: 3-line block ×3, first 2 shown]
	v_cvt_i32_f64_e32 v38, v[38:39]
	v_add_f64 v[29:30], v[29:30], -v[42:43]
	v_cvt_f64_i32_e32 v[36:37], v38
	v_add_f64 v[14:15], v[14:15], v[29:30]
	v_add_f64 v[21:22], v[21:22], -v[36:37]
	v_add_f64 v[14:15], v[16:17], v[14:15]
	v_add_f64 v[16:17], v[23:24], -v[19:20]
	v_add_f64 v[27:28], v[25:26], v[21:22]
	v_add_f64 v[10:11], v[10:11], v[14:15]
	v_add_f64 v[14:15], v[27:28], -v[21:22]
	v_cmp_le_f64_e32 vcc_lo, 0.5, v[27:28]
	v_add_f64 v[10:11], v[16:17], v[10:11]
	v_add_f64 v[14:15], v[25:26], -v[14:15]
	v_cndmask_b32_e64 v36, 0, 0x3ff00000, vcc_lo
	v_add_co_ci_u32_e64 v16, null, 0, v38, vcc_lo
	v_add_f64 v[10:11], v[10:11], v[14:15]
	v_add_f64 v[14:15], v[27:28], -v[35:36]
	v_add_f64 v[19:20], v[14:15], v[10:11]
	v_mul_f64 v[21:22], v[19:20], s[10:11]
	v_add_f64 v[14:15], v[19:20], -v[14:15]
	v_fma_f64 v[23:24], v[19:20], s[10:11], -v[21:22]
	v_add_f64 v[10:11], v[10:11], -v[14:15]
	v_fma_f64 v[14:15], v[19:20], s[12:13], v[23:24]
	v_fma_f64 v[14:15], v[10:11], s[10:11], v[14:15]
	v_add_f64 v[10:11], v[21:22], v[14:15]
	v_add_f64 v[19:20], v[10:11], -v[21:22]
	v_add_f64 v[14:15], v[14:15], -v[19:20]
.LBB0_80:
	s_andn2_saveexec_b32 s1, s1
	s_cbranch_execz .LBB0_82
; %bb.81:
	s_mov_b32 s10, 0x6dc9c883
	s_mov_b32 s11, 0x3fe45f30
	s_mov_b32 s13, 0xbc91a626
	v_mul_f64 v[10:11], |v[6:7]|, s[10:11]
	s_mov_b32 s10, 0x54442d18
	s_mov_b32 s11, 0xbff921fb
	;; [unrolled: 1-line block ×3, first 2 shown]
	v_rndne_f64_e32 v[16:17], v[10:11]
	v_fma_f64 v[10:11], v[16:17], s[10:11], |v[6:7]|
	v_mul_f64 v[14:15], v[16:17], s[12:13]
	s_mov_b32 s10, 0x252049c0
	s_mov_b32 s11, 0xb97b839a
	v_fma_f64 v[21:22], v[16:17], s[12:13], v[10:11]
	v_add_f64 v[19:20], v[10:11], v[14:15]
	s_mov_b32 s13, 0x3c91a626
	v_add_f64 v[10:11], v[10:11], -v[19:20]
	v_add_f64 v[19:20], v[19:20], -v[21:22]
	v_add_f64 v[10:11], v[10:11], v[14:15]
	v_fma_f64 v[14:15], v[16:17], s[12:13], v[14:15]
	v_add_f64 v[10:11], v[19:20], v[10:11]
	v_add_f64 v[10:11], v[10:11], -v[14:15]
	v_fma_f64 v[14:15], v[16:17], s[10:11], v[10:11]
	v_cvt_i32_f64_e32 v16, v[16:17]
	v_add_f64 v[10:11], v[21:22], v[14:15]
	v_add_f64 v[19:20], v[10:11], -v[21:22]
	v_add_f64 v[14:15], v[14:15], -v[19:20]
.LBB0_82:
	s_or_b32 exec_lo, exec_lo, s1
	v_mul_f64 v[19:20], v[10:11], v[10:11]
	s_mov_b32 s10, 0xb42fdfa7
	s_mov_b32 s12, 0xf9a43bb8
	s_mov_b32 s11, 0xbe5ae600
	s_mov_b32 s13, 0x3de5e0b2
	s_mov_b32 s14, 0x796cde01
	s_mov_b32 s15, 0x3ec71de3
	v_mul_f64 v[29:30], v[14:15], 0.5
	v_cmp_class_f64_e64 s1, v[6:7], 0x1f8
	v_fma_f64 v[21:22], v[19:20], s[12:13], s[10:11]
	s_mov_b32 s10, 0x9037ab78
	s_mov_b32 s12, 0x46cc5e42
	;; [unrolled: 1-line block ×4, first 2 shown]
	v_mul_f64 v[25:26], v[19:20], 0.5
	v_fma_f64 v[23:24], v[19:20], s[12:13], s[10:11]
	s_mov_b32 s10, 0xa17f65f6
	s_mov_b32 s12, 0x19e83e5c
	;; [unrolled: 1-line block ×4, first 2 shown]
	v_mul_f64 v[31:32], v[10:11], -v[19:20]
	v_fma_f64 v[21:22], v[19:20], v[21:22], s[14:15]
	v_add_f64 v[27:28], -v[25:26], 1.0
	v_fma_f64 v[23:24], v[19:20], v[23:24], s[10:11]
	s_mov_b32 s10, 0x19f4ec90
	s_mov_b32 s11, 0x3efa01a0
	v_fma_f64 v[21:22], v[19:20], v[21:22], s[12:13]
	s_mov_b32 s12, 0x11110bb3
	s_mov_b32 s13, 0x3f811111
	v_add_f64 v[33:34], -v[27:28], 1.0
	v_fma_f64 v[23:24], v[19:20], v[23:24], s[10:11]
	s_mov_b32 s10, 0x16c16967
	s_mov_b32 s11, 0xbf56c16c
	v_fma_f64 v[21:22], v[19:20], v[21:22], s[12:13]
	v_add_f64 v[25:26], v[33:34], -v[25:26]
	v_fma_f64 v[23:24], v[19:20], v[23:24], s[10:11]
	s_mov_b32 s11, 0x3fa55555
	s_mov_b32 s10, 0x55555555
	v_fma_f64 v[21:22], v[31:32], v[21:22], v[29:30]
	v_mul_f64 v[29:30], v[19:20], v[19:20]
	v_fma_f64 v[25:26], v[10:11], -v[14:15], v[25:26]
	v_fma_f64 v[23:24], v[19:20], v[23:24], s[10:11]
	s_mov_b32 s11, 0xbfc55555
	v_fma_f64 v[14:15], v[19:20], v[21:22], -v[14:15]
	v_fma_f64 v[19:20], v[29:30], v[23:24], v[25:26]
	v_fma_f64 v[14:15], v[31:32], s[10:11], v[14:15]
	v_add_f64 v[19:20], v[27:28], v[19:20]
	v_add_f64 v[10:11], v[10:11], -v[14:15]
	v_and_b32_e32 v14, 1, v16
	v_cmp_eq_u32_e32 vcc_lo, 0, v14
	v_lshlrev_b32_e32 v14, 30, v16
	v_xor_b32_e32 v14, v14, v7
	v_and_b32_e32 v14, 0x80000000, v14
	v_cndmask_b32_e32 v11, v20, v11, vcc_lo
	v_cndmask_b32_e32 v10, v19, v10, vcc_lo
	v_xor_b32_e32 v11, v11, v14
	v_cndmask_b32_e64 v10, 0, v10, s1
	v_cndmask_b32_e64 v11, 0x7ff80000, v11, s1
	v_div_scale_f64 v[14:15], null, v[6:7], v[6:7], v[10:11]
	v_rcp_f64_e32 v[16:17], v[14:15]
	v_fma_f64 v[19:20], -v[14:15], v[16:17], 1.0
	v_fma_f64 v[16:17], v[16:17], v[19:20], v[16:17]
	v_fma_f64 v[19:20], -v[14:15], v[16:17], 1.0
	v_fma_f64 v[16:17], v[16:17], v[19:20], v[16:17]
	v_div_scale_f64 v[19:20], vcc_lo, v[10:11], v[6:7], v[10:11]
	v_mul_f64 v[21:22], v[19:20], v[16:17]
	v_fma_f64 v[14:15], -v[14:15], v[21:22], v[19:20]
	v_div_fmas_f64 v[14:15], v[14:15], v[16:17], v[21:22]
	v_div_fixup_f64 v[10:11], v[14:15], v[6:7], v[10:11]
                                        ; implicit-def: $vgpr6_vgpr7
.LBB0_83:
	s_andn2_saveexec_b32 s1, s5
	s_cbranch_execz .LBB0_85
; %bb.84:
	v_mul_f64 v[6:7], v[6:7], v[6:7]
	s_mov_b32 s10, 0x67f544e4
	s_mov_b32 s12, 0x13a86d09
	;; [unrolled: 1-line block ×4, first 2 shown]
	v_fma_f64 v[10:11], v[6:7], s[12:13], s[10:11]
	s_mov_b32 s10, 0xa556c734
	s_mov_b32 s11, 0x3ec71de3
	v_fma_f64 v[10:11], v[6:7], v[10:11], s[10:11]
	s_mov_b32 s10, 0x1a01a01a
	s_mov_b32 s11, 0xbf2a01a0
	;; [unrolled: 3-line block ×4, first 2 shown]
	v_fma_f64 v[10:11], v[6:7], v[10:11], s[10:11]
	v_fma_f64 v[10:11], v[6:7], v[10:11], 1.0
.LBB0_85:
	s_or_b32 exec_lo, exec_lo, s1
.LBB0_86:
	s_or_b32 exec_lo, exec_lo, s4
.LBB0_87:
	s_or_b32 exec_lo, exec_lo, s3
	v_or_b32_e32 v6, 0x300, v0
	s_mov_b32 s3, exec_lo
	v_cmpx_gt_i32_e64 s6, v6
	s_cbranch_execnz .LBB0_94
; %bb.88:
	s_or_b32 exec_lo, exec_lo, s3
	s_and_saveexec_b32 s1, s0
	s_xor_b32 s0, exec_lo, s1
	s_cbranch_execnz .LBB0_105
.LBB0_89:
	s_or_b32 exec_lo, exec_lo, s0
	s_mov_b32 s0, exec_lo
	v_cmpx_gt_i32_e64 s6, v0
	s_cbranch_execnz .LBB0_106
.LBB0_90:
	s_or_b32 exec_lo, exec_lo, s0
	s_mov_b32 s0, exec_lo
	v_cmpx_gt_i32_e64 s6, v0
	s_cbranch_execnz .LBB0_107
.LBB0_91:
	s_or_b32 exec_lo, exec_lo, s0
	s_mov_b32 s0, exec_lo
	v_cmpx_gt_i32_e64 s6, v0
	s_cbranch_execz .LBB0_93
.LBB0_92:
	v_add_nc_u32_e32 v0, s2, v0
	v_mov_b32_e32 v1, 0
	v_lshlrev_b64 v[0:1], 3, v[0:1]
	v_add_co_u32 v0, vcc_lo, s8, v0
	v_add_co_ci_u32_e64 v1, null, s9, v1, vcc_lo
	global_store_dwordx2 v[0:1], v[8:9], off
.LBB0_93:
	s_endpgm
.LBB0_94:
	v_mov_b32_e32 v8, 0
	v_mov_b32_e32 v9, 0
	s_mov_b32 s4, exec_lo
	v_cmpx_neq_f64_e64 0x7ff00000, |v[2:3]|
	s_cbranch_execz .LBB0_104
; %bb.95:
	s_mov_b32 s5, exec_lo
	v_cmpx_nlt_f64_e64 |v[2:3]|, 0.5
	s_xor_b32 s5, exec_lo, s5
                                        ; implicit-def: $vgpr8_vgpr9
	s_cbranch_execz .LBB0_101
; %bb.96:
	v_cmp_ngt_f64_e64 s1, 0x41d00000, |v[2:3]|
                                        ; implicit-def: $vgpr14
                                        ; implicit-def: $vgpr6_vgpr7
                                        ; implicit-def: $vgpr8_vgpr9
	s_and_saveexec_b32 s7, s1
	s_xor_b32 s1, exec_lo, s7
	s_cbranch_execz .LBB0_98
; %bb.97:
	v_ldexp_f64 v[6:7], |v[2:3]|, 0xffffff80
	v_cmp_le_f64_e64 vcc_lo, 0x7b000000, |v[2:3]|
	v_trig_preop_f64 v[8:9], |v[2:3]|, 0
	v_and_b32_e32 v14, 0x7fffffff, v3
	v_trig_preop_f64 v[25:26], |v[2:3]|, 2
	v_mov_b32_e32 v33, 0
	s_mov_b32 s10, 0x54442d18
	s_mov_b32 s11, 0x3ff921fb
	s_mov_b32 s12, 0x33145c07
	s_mov_b32 s13, 0x3c91a626
	v_cndmask_b32_e32 v7, v14, v7, vcc_lo
	v_cndmask_b32_e32 v6, v2, v6, vcc_lo
	v_trig_preop_f64 v[14:15], |v[2:3]|, 1
	v_mul_f64 v[16:17], v[8:9], v[6:7]
	v_mul_f64 v[31:32], v[25:26], v[6:7]
	v_mul_f64 v[19:20], v[14:15], v[6:7]
	v_fma_f64 v[8:9], v[8:9], v[6:7], -v[16:17]
	v_fma_f64 v[14:15], v[14:15], v[6:7], -v[19:20]
	;; [unrolled: 1-line block ×3, first 2 shown]
	v_add_f64 v[21:22], v[19:20], v[8:9]
	v_add_f64 v[23:24], v[21:22], -v[19:20]
	v_add_f64 v[29:30], v[16:17], v[21:22]
	v_add_f64 v[27:28], v[21:22], -v[23:24]
	v_add_f64 v[8:9], v[8:9], -v[23:24]
	v_ldexp_f64 v[23:24], v[29:30], -2
	v_add_f64 v[16:17], v[29:30], -v[16:17]
	v_add_f64 v[19:20], v[19:20], -v[27:28]
	v_add_f64 v[27:28], v[31:32], v[14:15]
	v_cmp_neq_f64_e64 vcc_lo, 0x7ff00000, |v[23:24]|
	v_add_f64 v[16:17], v[21:22], -v[16:17]
	v_add_f64 v[8:9], v[8:9], v[19:20]
	v_fract_f64_e32 v[19:20], v[23:24]
	v_add_f64 v[21:22], v[27:28], v[8:9]
	v_ldexp_f64 v[19:20], v[19:20], 2
	v_add_f64 v[23:24], v[16:17], v[21:22]
	v_cndmask_b32_e32 v20, 0, v20, vcc_lo
	v_cndmask_b32_e32 v19, 0, v19, vcc_lo
	v_add_f64 v[29:30], v[23:24], v[19:20]
	v_add_f64 v[16:17], v[23:24], -v[16:17]
	v_cmp_gt_f64_e32 vcc_lo, 0, v[29:30]
	v_add_f64 v[29:30], v[27:28], -v[31:32]
	v_cndmask_b32_e64 v34, 0, 0x40100000, vcc_lo
	v_add_f64 v[38:39], v[27:28], -v[29:30]
	v_add_f64 v[14:15], v[14:15], -v[29:30]
	v_add_f64 v[19:20], v[19:20], v[33:34]
	v_add_f64 v[34:35], v[21:22], -v[27:28]
	v_add_f64 v[29:30], v[31:32], -v[38:39]
	v_add_f64 v[36:37], v[23:24], v[19:20]
	;; [unrolled: 3-line block ×3, first 2 shown]
	v_cvt_i32_f64_e32 v36, v[36:37]
	v_add_f64 v[27:28], v[27:28], -v[40:41]
	v_cvt_f64_i32_e32 v[34:35], v36
	v_add_f64 v[8:9], v[8:9], v[27:28]
	v_add_f64 v[19:20], v[19:20], -v[34:35]
	v_add_f64 v[8:9], v[14:15], v[8:9]
	v_add_f64 v[14:15], v[21:22], -v[16:17]
	v_add_f64 v[25:26], v[23:24], v[19:20]
	v_add_f64 v[6:7], v[6:7], v[8:9]
	v_add_f64 v[8:9], v[25:26], -v[19:20]
	v_cmp_le_f64_e32 vcc_lo, 0.5, v[25:26]
	v_add_f64 v[6:7], v[14:15], v[6:7]
	v_add_f64 v[8:9], v[23:24], -v[8:9]
	v_cndmask_b32_e64 v34, 0, 0x3ff00000, vcc_lo
	v_add_co_ci_u32_e64 v14, null, 0, v36, vcc_lo
	v_add_f64 v[6:7], v[6:7], v[8:9]
	v_add_f64 v[8:9], v[25:26], -v[33:34]
	v_add_f64 v[15:16], v[8:9], v[6:7]
	v_mul_f64 v[19:20], v[15:16], s[10:11]
	v_add_f64 v[8:9], v[15:16], -v[8:9]
	v_fma_f64 v[21:22], v[15:16], s[10:11], -v[19:20]
	v_add_f64 v[6:7], v[6:7], -v[8:9]
	v_fma_f64 v[8:9], v[15:16], s[12:13], v[21:22]
	v_fma_f64 v[8:9], v[6:7], s[10:11], v[8:9]
	v_add_f64 v[6:7], v[19:20], v[8:9]
	v_add_f64 v[15:16], v[6:7], -v[19:20]
	v_add_f64 v[8:9], v[8:9], -v[15:16]
.LBB0_98:
	s_andn2_saveexec_b32 s1, s1
	s_cbranch_execz .LBB0_100
; %bb.99:
	s_mov_b32 s10, 0x6dc9c883
	s_mov_b32 s11, 0x3fe45f30
	;; [unrolled: 1-line block ×3, first 2 shown]
	v_mul_f64 v[6:7], |v[2:3]|, s[10:11]
	s_mov_b32 s10, 0x54442d18
	s_mov_b32 s11, 0xbff921fb
	;; [unrolled: 1-line block ×3, first 2 shown]
	v_rndne_f64_e32 v[14:15], v[6:7]
	v_fma_f64 v[6:7], v[14:15], s[10:11], |v[2:3]|
	v_mul_f64 v[8:9], v[14:15], s[12:13]
	s_mov_b32 s10, 0x252049c0
	s_mov_b32 s11, 0xb97b839a
	v_fma_f64 v[19:20], v[14:15], s[12:13], v[6:7]
	v_add_f64 v[16:17], v[6:7], v[8:9]
	s_mov_b32 s13, 0x3c91a626
	v_add_f64 v[6:7], v[6:7], -v[16:17]
	v_add_f64 v[16:17], v[16:17], -v[19:20]
	v_add_f64 v[6:7], v[6:7], v[8:9]
	v_fma_f64 v[8:9], v[14:15], s[12:13], v[8:9]
	v_add_f64 v[6:7], v[16:17], v[6:7]
	v_add_f64 v[6:7], v[6:7], -v[8:9]
	v_fma_f64 v[8:9], v[14:15], s[10:11], v[6:7]
	v_cvt_i32_f64_e32 v14, v[14:15]
	v_add_f64 v[6:7], v[19:20], v[8:9]
	v_add_f64 v[16:17], v[6:7], -v[19:20]
	v_add_f64 v[8:9], v[8:9], -v[16:17]
.LBB0_100:
	s_or_b32 exec_lo, exec_lo, s1
	v_mul_f64 v[15:16], v[6:7], v[6:7]
	s_mov_b32 s10, 0xb42fdfa7
	s_mov_b32 s12, 0xf9a43bb8
	;; [unrolled: 1-line block ×6, first 2 shown]
	v_mul_f64 v[27:28], v[8:9], 0.5
	v_cmp_class_f64_e64 s1, v[2:3], 0x1f8
	v_fma_f64 v[19:20], v[15:16], s[12:13], s[10:11]
	s_mov_b32 s10, 0x9037ab78
	s_mov_b32 s12, 0x46cc5e42
	;; [unrolled: 1-line block ×4, first 2 shown]
	v_mul_f64 v[23:24], v[15:16], 0.5
	v_fma_f64 v[21:22], v[15:16], s[12:13], s[10:11]
	s_mov_b32 s10, 0xa17f65f6
	s_mov_b32 s12, 0x19e83e5c
	;; [unrolled: 1-line block ×4, first 2 shown]
	v_mul_f64 v[29:30], v[6:7], -v[15:16]
	v_fma_f64 v[19:20], v[15:16], v[19:20], s[14:15]
	v_add_f64 v[25:26], -v[23:24], 1.0
	v_fma_f64 v[21:22], v[15:16], v[21:22], s[10:11]
	s_mov_b32 s10, 0x19f4ec90
	s_mov_b32 s11, 0x3efa01a0
	v_fma_f64 v[19:20], v[15:16], v[19:20], s[12:13]
	s_mov_b32 s12, 0x11110bb3
	s_mov_b32 s13, 0x3f811111
	v_add_f64 v[31:32], -v[25:26], 1.0
	v_fma_f64 v[21:22], v[15:16], v[21:22], s[10:11]
	s_mov_b32 s10, 0x16c16967
	s_mov_b32 s11, 0xbf56c16c
	v_fma_f64 v[19:20], v[15:16], v[19:20], s[12:13]
	v_add_f64 v[23:24], v[31:32], -v[23:24]
	v_fma_f64 v[21:22], v[15:16], v[21:22], s[10:11]
	s_mov_b32 s11, 0x3fa55555
	s_mov_b32 s10, 0x55555555
	v_fma_f64 v[19:20], v[29:30], v[19:20], v[27:28]
	v_mul_f64 v[27:28], v[15:16], v[15:16]
	v_fma_f64 v[23:24], v[6:7], -v[8:9], v[23:24]
	v_fma_f64 v[21:22], v[15:16], v[21:22], s[10:11]
	s_mov_b32 s11, 0xbfc55555
	v_fma_f64 v[8:9], v[15:16], v[19:20], -v[8:9]
	v_fma_f64 v[15:16], v[27:28], v[21:22], v[23:24]
	v_fma_f64 v[8:9], v[29:30], s[10:11], v[8:9]
	v_add_f64 v[15:16], v[25:26], v[15:16]
	v_add_f64 v[6:7], v[6:7], -v[8:9]
	v_and_b32_e32 v8, 1, v14
	v_cmp_eq_u32_e32 vcc_lo, 0, v8
	v_lshlrev_b32_e32 v8, 30, v14
	v_xor_b32_e32 v8, v8, v3
	v_and_b32_e32 v8, 0x80000000, v8
	v_cndmask_b32_e32 v7, v16, v7, vcc_lo
	v_cndmask_b32_e32 v6, v15, v6, vcc_lo
	v_xor_b32_e32 v7, v7, v8
	v_cndmask_b32_e64 v6, 0, v6, s1
	v_cndmask_b32_e64 v7, 0x7ff80000, v7, s1
	v_div_scale_f64 v[8:9], null, v[2:3], v[2:3], v[6:7]
	v_rcp_f64_e32 v[14:15], v[8:9]
	v_fma_f64 v[16:17], -v[8:9], v[14:15], 1.0
	v_fma_f64 v[14:15], v[14:15], v[16:17], v[14:15]
	v_fma_f64 v[16:17], -v[8:9], v[14:15], 1.0
	v_fma_f64 v[14:15], v[14:15], v[16:17], v[14:15]
	v_div_scale_f64 v[16:17], vcc_lo, v[6:7], v[2:3], v[6:7]
	v_mul_f64 v[19:20], v[16:17], v[14:15]
	v_fma_f64 v[8:9], -v[8:9], v[19:20], v[16:17]
	v_div_fmas_f64 v[8:9], v[8:9], v[14:15], v[19:20]
	v_div_fixup_f64 v[8:9], v[8:9], v[2:3], v[6:7]
                                        ; implicit-def: $vgpr2_vgpr3
.LBB0_101:
	s_andn2_saveexec_b32 s1, s5
	s_cbranch_execz .LBB0_103
; %bb.102:
	v_mul_f64 v[2:3], v[2:3], v[2:3]
	s_mov_b32 s10, 0x67f544e4
	s_mov_b32 s12, 0x13a86d09
	;; [unrolled: 1-line block ×4, first 2 shown]
	v_fma_f64 v[6:7], v[2:3], s[12:13], s[10:11]
	s_mov_b32 s10, 0xa556c734
	s_mov_b32 s11, 0x3ec71de3
	v_fma_f64 v[6:7], v[2:3], v[6:7], s[10:11]
	s_mov_b32 s10, 0x1a01a01a
	s_mov_b32 s11, 0xbf2a01a0
	;; [unrolled: 3-line block ×4, first 2 shown]
	v_fma_f64 v[6:7], v[2:3], v[6:7], s[10:11]
	v_fma_f64 v[8:9], v[2:3], v[6:7], 1.0
.LBB0_103:
	s_or_b32 exec_lo, exec_lo, s1
.LBB0_104:
	s_or_b32 exec_lo, exec_lo, s4
	s_or_b32 exec_lo, exec_lo, s3
	s_and_saveexec_b32 s1, s0
	s_xor_b32 s0, exec_lo, s1
	s_cbranch_execz .LBB0_89
.LBB0_105:
	v_mov_b32_e32 v2, 0
	v_lshlrev_b64 v[0:1], 3, v[1:2]
	v_add_co_u32 v2, vcc_lo, s8, v0
	v_add_co_ci_u32_e64 v3, null, s9, v1, vcc_lo
	v_mov_b32_e32 v0, v18
	global_store_dwordx2 v[2:3], v[4:5], off
	s_or_b32 exec_lo, exec_lo, s0
	s_mov_b32 s0, exec_lo
	v_cmpx_gt_i32_e64 s6, v0
	s_cbranch_execz .LBB0_90
.LBB0_106:
	v_add_nc_u32_e32 v1, s2, v0
	v_mov_b32_e32 v2, 0
	v_add_nc_u32_e32 v0, 0x100, v0
	v_lshlrev_b64 v[1:2], 3, v[1:2]
	v_add_co_u32 v1, vcc_lo, s8, v1
	v_add_co_ci_u32_e64 v2, null, s9, v2, vcc_lo
	global_store_dwordx2 v[1:2], v[12:13], off
	s_or_b32 exec_lo, exec_lo, s0
	s_mov_b32 s0, exec_lo
	v_cmpx_gt_i32_e64 s6, v0
	s_cbranch_execz .LBB0_91
.LBB0_107:
	v_add_nc_u32_e32 v1, s2, v0
	v_mov_b32_e32 v2, 0
	v_add_nc_u32_e32 v0, 0x100, v0
	v_lshlrev_b64 v[1:2], 3, v[1:2]
	v_add_co_u32 v1, vcc_lo, s8, v1
	v_add_co_ci_u32_e64 v2, null, s9, v2, vcc_lo
	global_store_dwordx2 v[1:2], v[10:11], off
	s_or_b32 exec_lo, exec_lo, s0
	s_mov_b32 s0, exec_lo
	v_cmpx_gt_i32_e64 s6, v0
	s_cbranch_execnz .LBB0_92
	s_branch .LBB0_93
	.section	.rodata,"a",@progbits
	.p2align	6, 0x0
	.amdhsa_kernel _ZN2at6native29vectorized_elementwise_kernelILi16EZZZNS0_12_GLOBAL__N_131spherical_bessel_j0_kernel_cudaERNS_18TensorIteratorBaseEENKUlvE_clEvENKUlvE_clEvEUldE_St5arrayIPcLm2EEEEviT0_T1_
		.amdhsa_group_segment_fixed_size 0
		.amdhsa_private_segment_fixed_size 0
		.amdhsa_kernarg_size 24
		.amdhsa_user_sgpr_count 6
		.amdhsa_user_sgpr_private_segment_buffer 1
		.amdhsa_user_sgpr_dispatch_ptr 0
		.amdhsa_user_sgpr_queue_ptr 0
		.amdhsa_user_sgpr_kernarg_segment_ptr 1
		.amdhsa_user_sgpr_dispatch_id 0
		.amdhsa_user_sgpr_flat_scratch_init 0
		.amdhsa_user_sgpr_private_segment_size 0
		.amdhsa_wavefront_size32 1
		.amdhsa_uses_dynamic_stack 0
		.amdhsa_system_sgpr_private_segment_wavefront_offset 0
		.amdhsa_system_sgpr_workgroup_id_x 1
		.amdhsa_system_sgpr_workgroup_id_y 0
		.amdhsa_system_sgpr_workgroup_id_z 0
		.amdhsa_system_sgpr_workgroup_info 0
		.amdhsa_system_vgpr_workitem_id 0
		.amdhsa_next_free_vgpr 46
		.amdhsa_next_free_sgpr 18
		.amdhsa_reserve_vcc 1
		.amdhsa_reserve_flat_scratch 0
		.amdhsa_float_round_mode_32 0
		.amdhsa_float_round_mode_16_64 0
		.amdhsa_float_denorm_mode_32 3
		.amdhsa_float_denorm_mode_16_64 3
		.amdhsa_dx10_clamp 1
		.amdhsa_ieee_mode 1
		.amdhsa_fp16_overflow 0
		.amdhsa_workgroup_processor_mode 1
		.amdhsa_memory_ordered 1
		.amdhsa_forward_progress 1
		.amdhsa_shared_vgpr_count 0
		.amdhsa_exception_fp_ieee_invalid_op 0
		.amdhsa_exception_fp_denorm_src 0
		.amdhsa_exception_fp_ieee_div_zero 0
		.amdhsa_exception_fp_ieee_overflow 0
		.amdhsa_exception_fp_ieee_underflow 0
		.amdhsa_exception_fp_ieee_inexact 0
		.amdhsa_exception_int_div_zero 0
	.end_amdhsa_kernel
	.section	.text._ZN2at6native29vectorized_elementwise_kernelILi16EZZZNS0_12_GLOBAL__N_131spherical_bessel_j0_kernel_cudaERNS_18TensorIteratorBaseEENKUlvE_clEvENKUlvE_clEvEUldE_St5arrayIPcLm2EEEEviT0_T1_,"axG",@progbits,_ZN2at6native29vectorized_elementwise_kernelILi16EZZZNS0_12_GLOBAL__N_131spherical_bessel_j0_kernel_cudaERNS_18TensorIteratorBaseEENKUlvE_clEvENKUlvE_clEvEUldE_St5arrayIPcLm2EEEEviT0_T1_,comdat
.Lfunc_end0:
	.size	_ZN2at6native29vectorized_elementwise_kernelILi16EZZZNS0_12_GLOBAL__N_131spherical_bessel_j0_kernel_cudaERNS_18TensorIteratorBaseEENKUlvE_clEvENKUlvE_clEvEUldE_St5arrayIPcLm2EEEEviT0_T1_, .Lfunc_end0-_ZN2at6native29vectorized_elementwise_kernelILi16EZZZNS0_12_GLOBAL__N_131spherical_bessel_j0_kernel_cudaERNS_18TensorIteratorBaseEENKUlvE_clEvENKUlvE_clEvEUldE_St5arrayIPcLm2EEEEviT0_T1_
                                        ; -- End function
	.set _ZN2at6native29vectorized_elementwise_kernelILi16EZZZNS0_12_GLOBAL__N_131spherical_bessel_j0_kernel_cudaERNS_18TensorIteratorBaseEENKUlvE_clEvENKUlvE_clEvEUldE_St5arrayIPcLm2EEEEviT0_T1_.num_vgpr, 46
	.set _ZN2at6native29vectorized_elementwise_kernelILi16EZZZNS0_12_GLOBAL__N_131spherical_bessel_j0_kernel_cudaERNS_18TensorIteratorBaseEENKUlvE_clEvENKUlvE_clEvEUldE_St5arrayIPcLm2EEEEviT0_T1_.num_agpr, 0
	.set _ZN2at6native29vectorized_elementwise_kernelILi16EZZZNS0_12_GLOBAL__N_131spherical_bessel_j0_kernel_cudaERNS_18TensorIteratorBaseEENKUlvE_clEvENKUlvE_clEvEUldE_St5arrayIPcLm2EEEEviT0_T1_.numbered_sgpr, 18
	.set _ZN2at6native29vectorized_elementwise_kernelILi16EZZZNS0_12_GLOBAL__N_131spherical_bessel_j0_kernel_cudaERNS_18TensorIteratorBaseEENKUlvE_clEvENKUlvE_clEvEUldE_St5arrayIPcLm2EEEEviT0_T1_.num_named_barrier, 0
	.set _ZN2at6native29vectorized_elementwise_kernelILi16EZZZNS0_12_GLOBAL__N_131spherical_bessel_j0_kernel_cudaERNS_18TensorIteratorBaseEENKUlvE_clEvENKUlvE_clEvEUldE_St5arrayIPcLm2EEEEviT0_T1_.private_seg_size, 0
	.set _ZN2at6native29vectorized_elementwise_kernelILi16EZZZNS0_12_GLOBAL__N_131spherical_bessel_j0_kernel_cudaERNS_18TensorIteratorBaseEENKUlvE_clEvENKUlvE_clEvEUldE_St5arrayIPcLm2EEEEviT0_T1_.uses_vcc, 1
	.set _ZN2at6native29vectorized_elementwise_kernelILi16EZZZNS0_12_GLOBAL__N_131spherical_bessel_j0_kernel_cudaERNS_18TensorIteratorBaseEENKUlvE_clEvENKUlvE_clEvEUldE_St5arrayIPcLm2EEEEviT0_T1_.uses_flat_scratch, 0
	.set _ZN2at6native29vectorized_elementwise_kernelILi16EZZZNS0_12_GLOBAL__N_131spherical_bessel_j0_kernel_cudaERNS_18TensorIteratorBaseEENKUlvE_clEvENKUlvE_clEvEUldE_St5arrayIPcLm2EEEEviT0_T1_.has_dyn_sized_stack, 0
	.set _ZN2at6native29vectorized_elementwise_kernelILi16EZZZNS0_12_GLOBAL__N_131spherical_bessel_j0_kernel_cudaERNS_18TensorIteratorBaseEENKUlvE_clEvENKUlvE_clEvEUldE_St5arrayIPcLm2EEEEviT0_T1_.has_recursion, 0
	.set _ZN2at6native29vectorized_elementwise_kernelILi16EZZZNS0_12_GLOBAL__N_131spherical_bessel_j0_kernel_cudaERNS_18TensorIteratorBaseEENKUlvE_clEvENKUlvE_clEvEUldE_St5arrayIPcLm2EEEEviT0_T1_.has_indirect_call, 0
	.section	.AMDGPU.csdata,"",@progbits
; Kernel info:
; codeLenInByte = 13596
; TotalNumSgprs: 20
; NumVgprs: 46
; ScratchSize: 0
; MemoryBound: 1
; FloatMode: 240
; IeeeMode: 1
; LDSByteSize: 0 bytes/workgroup (compile time only)
; SGPRBlocks: 0
; VGPRBlocks: 5
; NumSGPRsForWavesPerEU: 20
; NumVGPRsForWavesPerEU: 46
; Occupancy: 16
; WaveLimiterHint : 0
; COMPUTE_PGM_RSRC2:SCRATCH_EN: 0
; COMPUTE_PGM_RSRC2:USER_SGPR: 6
; COMPUTE_PGM_RSRC2:TRAP_HANDLER: 0
; COMPUTE_PGM_RSRC2:TGID_X_EN: 1
; COMPUTE_PGM_RSRC2:TGID_Y_EN: 0
; COMPUTE_PGM_RSRC2:TGID_Z_EN: 0
; COMPUTE_PGM_RSRC2:TIDIG_COMP_CNT: 0
	.section	.text._ZN2at6native29vectorized_elementwise_kernelILi8EZZZNS0_12_GLOBAL__N_131spherical_bessel_j0_kernel_cudaERNS_18TensorIteratorBaseEENKUlvE_clEvENKUlvE_clEvEUldE_St5arrayIPcLm2EEEEviT0_T1_,"axG",@progbits,_ZN2at6native29vectorized_elementwise_kernelILi8EZZZNS0_12_GLOBAL__N_131spherical_bessel_j0_kernel_cudaERNS_18TensorIteratorBaseEENKUlvE_clEvENKUlvE_clEvEUldE_St5arrayIPcLm2EEEEviT0_T1_,comdat
	.globl	_ZN2at6native29vectorized_elementwise_kernelILi8EZZZNS0_12_GLOBAL__N_131spherical_bessel_j0_kernel_cudaERNS_18TensorIteratorBaseEENKUlvE_clEvENKUlvE_clEvEUldE_St5arrayIPcLm2EEEEviT0_T1_ ; -- Begin function _ZN2at6native29vectorized_elementwise_kernelILi8EZZZNS0_12_GLOBAL__N_131spherical_bessel_j0_kernel_cudaERNS_18TensorIteratorBaseEENKUlvE_clEvENKUlvE_clEvEUldE_St5arrayIPcLm2EEEEviT0_T1_
	.p2align	8
	.type	_ZN2at6native29vectorized_elementwise_kernelILi8EZZZNS0_12_GLOBAL__N_131spherical_bessel_j0_kernel_cudaERNS_18TensorIteratorBaseEENKUlvE_clEvENKUlvE_clEvEUldE_St5arrayIPcLm2EEEEviT0_T1_,@function
_ZN2at6native29vectorized_elementwise_kernelILi8EZZZNS0_12_GLOBAL__N_131spherical_bessel_j0_kernel_cudaERNS_18TensorIteratorBaseEENKUlvE_clEvENKUlvE_clEvEUldE_St5arrayIPcLm2EEEEviT0_T1_: ; @_ZN2at6native29vectorized_elementwise_kernelILi8EZZZNS0_12_GLOBAL__N_131spherical_bessel_j0_kernel_cudaERNS_18TensorIteratorBaseEENKUlvE_clEvENKUlvE_clEvEUldE_St5arrayIPcLm2EEEEviT0_T1_
; %bb.0:
	s_clause 0x1
	s_load_dword s0, s[4:5], 0x0
	s_load_dwordx4 s[8:11], s[4:5], 0x8
	s_lshl_b32 s2, s6, 10
	s_waitcnt lgkmcnt(0)
	s_sub_i32 s6, s0, s2
	s_mov_b32 s0, -1
	s_cmpk_gt_i32 s6, 0x3ff
	s_cbranch_scc0 .LBB1_42
; %bb.1:
	s_ashr_i32 s3, s2, 31
	v_lshlrev_b32_e32 v15, 5, v0
	s_lshl_b64 s[4:5], s[2:3], 3
	v_mov_b32_e32 v3, 0
	s_add_u32 s0, s10, s4
	s_addc_u32 s1, s11, s5
	v_mov_b32_e32 v1, 0
	s_clause 0x1
	global_load_dwordx4 v[9:12], v15, s[0:1]
	global_load_dwordx4 v[5:8], v15, s[0:1] offset:16
	v_mov_b32_e32 v4, 0
	v_mov_b32_e32 v2, 0
	s_mov_b32 s1, exec_lo
	s_waitcnt vmcnt(1)
	v_cmpx_neq_f64_e64 0x7ff00000, |v[9:10]|
	s_cbranch_execz .LBB1_11
; %bb.2:
	s_mov_b32 s3, exec_lo
	v_cmpx_nlt_f64_e64 |v[9:10]|, 0.5
	s_xor_b32 s3, exec_lo, s3
	s_cbranch_execz .LBB1_8
; %bb.3:
	v_cmp_ngt_f64_e64 s0, 0x41d00000, |v[9:10]|
                                        ; implicit-def: $vgpr16
                                        ; implicit-def: $vgpr1_vgpr2
                                        ; implicit-def: $vgpr13_vgpr14
	s_and_saveexec_b32 s7, s0
	s_xor_b32 s0, exec_lo, s7
	s_cbranch_execz .LBB1_5
; %bb.4:
	v_ldexp_f64 v[1:2], |v[9:10]|, 0xffffff80
	v_cmp_le_f64_e64 vcc_lo, 0x7b000000, |v[9:10]|
	v_trig_preop_f64 v[13:14], |v[9:10]|, 0
	v_and_b32_e32 v16, 0x7fffffff, v10
	v_trig_preop_f64 v[26:27], |v[9:10]|, 2
	v_mov_b32_e32 v34, 0
	s_mov_b32 s12, 0x54442d18
	s_mov_b32 s13, 0x3ff921fb
	s_mov_b32 s14, 0x33145c07
	s_mov_b32 s15, 0x3c91a626
	v_cndmask_b32_e32 v2, v16, v2, vcc_lo
	v_cndmask_b32_e32 v1, v9, v1, vcc_lo
	v_trig_preop_f64 v[16:17], |v[9:10]|, 1
	v_mul_f64 v[18:19], v[13:14], v[1:2]
	v_mul_f64 v[32:33], v[26:27], v[1:2]
	;; [unrolled: 1-line block ×3, first 2 shown]
	v_fma_f64 v[13:14], v[13:14], v[1:2], -v[18:19]
	v_fma_f64 v[16:17], v[16:17], v[1:2], -v[20:21]
	;; [unrolled: 1-line block ×3, first 2 shown]
	v_add_f64 v[22:23], v[20:21], v[13:14]
	v_add_f64 v[24:25], v[22:23], -v[20:21]
	v_add_f64 v[30:31], v[18:19], v[22:23]
	v_add_f64 v[28:29], v[22:23], -v[24:25]
	v_add_f64 v[13:14], v[13:14], -v[24:25]
	v_ldexp_f64 v[24:25], v[30:31], -2
	v_add_f64 v[18:19], v[30:31], -v[18:19]
	v_add_f64 v[20:21], v[20:21], -v[28:29]
	v_add_f64 v[28:29], v[32:33], v[16:17]
	v_cmp_neq_f64_e64 vcc_lo, 0x7ff00000, |v[24:25]|
	v_add_f64 v[18:19], v[22:23], -v[18:19]
	v_add_f64 v[13:14], v[13:14], v[20:21]
	v_fract_f64_e32 v[20:21], v[24:25]
	v_add_f64 v[22:23], v[28:29], v[13:14]
	v_ldexp_f64 v[20:21], v[20:21], 2
	v_add_f64 v[24:25], v[18:19], v[22:23]
	v_cndmask_b32_e32 v21, 0, v21, vcc_lo
	v_cndmask_b32_e32 v20, 0, v20, vcc_lo
	v_add_f64 v[30:31], v[24:25], v[20:21]
	v_add_f64 v[18:19], v[24:25], -v[18:19]
	v_cmp_gt_f64_e32 vcc_lo, 0, v[30:31]
	v_add_f64 v[30:31], v[28:29], -v[32:33]
	v_cndmask_b32_e64 v35, 0, 0x40100000, vcc_lo
	v_add_f64 v[39:40], v[28:29], -v[30:31]
	v_add_f64 v[16:17], v[16:17], -v[30:31]
	v_add_f64 v[20:21], v[20:21], v[34:35]
	v_add_f64 v[35:36], v[22:23], -v[28:29]
	v_add_f64 v[30:31], v[32:33], -v[39:40]
	v_add_f64 v[37:38], v[24:25], v[20:21]
	;; [unrolled: 3-line block ×3, first 2 shown]
	v_cvt_i32_f64_e32 v37, v[37:38]
	v_add_f64 v[28:29], v[28:29], -v[41:42]
	v_cvt_f64_i32_e32 v[35:36], v37
	v_add_f64 v[13:14], v[13:14], v[28:29]
	v_add_f64 v[20:21], v[20:21], -v[35:36]
	v_add_f64 v[13:14], v[16:17], v[13:14]
	v_add_f64 v[16:17], v[22:23], -v[18:19]
	v_add_f64 v[26:27], v[24:25], v[20:21]
	v_add_f64 v[1:2], v[1:2], v[13:14]
	v_add_f64 v[13:14], v[26:27], -v[20:21]
	v_cmp_le_f64_e32 vcc_lo, 0.5, v[26:27]
	v_add_f64 v[1:2], v[16:17], v[1:2]
	v_add_f64 v[13:14], v[24:25], -v[13:14]
	v_cndmask_b32_e64 v35, 0, 0x3ff00000, vcc_lo
	v_add_co_ci_u32_e64 v16, null, 0, v37, vcc_lo
	v_add_f64 v[1:2], v[1:2], v[13:14]
	v_add_f64 v[13:14], v[26:27], -v[34:35]
	v_add_f64 v[17:18], v[13:14], v[1:2]
	v_mul_f64 v[19:20], v[17:18], s[12:13]
	v_add_f64 v[13:14], v[17:18], -v[13:14]
	v_fma_f64 v[21:22], v[17:18], s[12:13], -v[19:20]
	v_add_f64 v[1:2], v[1:2], -v[13:14]
	v_fma_f64 v[13:14], v[17:18], s[14:15], v[21:22]
	v_fma_f64 v[13:14], v[1:2], s[12:13], v[13:14]
	v_add_f64 v[1:2], v[19:20], v[13:14]
	v_add_f64 v[17:18], v[1:2], -v[19:20]
	v_add_f64 v[13:14], v[13:14], -v[17:18]
.LBB1_5:
	s_andn2_saveexec_b32 s0, s0
	s_cbranch_execz .LBB1_7
; %bb.6:
	s_mov_b32 s12, 0x6dc9c883
	s_mov_b32 s13, 0x3fe45f30
	;; [unrolled: 1-line block ×3, first 2 shown]
	v_mul_f64 v[1:2], |v[9:10]|, s[12:13]
	s_mov_b32 s12, 0x54442d18
	s_mov_b32 s13, 0xbff921fb
	;; [unrolled: 1-line block ×3, first 2 shown]
	v_rndne_f64_e32 v[16:17], v[1:2]
	v_fma_f64 v[1:2], v[16:17], s[12:13], |v[9:10]|
	v_mul_f64 v[13:14], v[16:17], s[14:15]
	s_mov_b32 s12, 0x252049c0
	s_mov_b32 s13, 0xb97b839a
	v_fma_f64 v[20:21], v[16:17], s[14:15], v[1:2]
	v_add_f64 v[18:19], v[1:2], v[13:14]
	s_mov_b32 s15, 0x3c91a626
	v_add_f64 v[1:2], v[1:2], -v[18:19]
	v_add_f64 v[18:19], v[18:19], -v[20:21]
	v_add_f64 v[1:2], v[1:2], v[13:14]
	v_fma_f64 v[13:14], v[16:17], s[14:15], v[13:14]
	v_add_f64 v[1:2], v[18:19], v[1:2]
	v_add_f64 v[1:2], v[1:2], -v[13:14]
	v_fma_f64 v[13:14], v[16:17], s[12:13], v[1:2]
	v_cvt_i32_f64_e32 v16, v[16:17]
	v_add_f64 v[1:2], v[20:21], v[13:14]
	v_add_f64 v[18:19], v[1:2], -v[20:21]
	v_add_f64 v[13:14], v[13:14], -v[18:19]
.LBB1_7:
	s_or_b32 exec_lo, exec_lo, s0
	v_mul_f64 v[17:18], v[1:2], v[1:2]
	s_mov_b32 s12, 0xb42fdfa7
	s_mov_b32 s14, 0xf9a43bb8
	;; [unrolled: 1-line block ×6, first 2 shown]
	v_mul_f64 v[27:28], v[13:14], 0.5
	v_cmp_class_f64_e64 s0, v[9:10], 0x1f8
	v_fma_f64 v[19:20], v[17:18], s[14:15], s[12:13]
	s_mov_b32 s12, 0x9037ab78
	s_mov_b32 s14, 0x46cc5e42
	;; [unrolled: 1-line block ×4, first 2 shown]
	v_mul_f64 v[23:24], v[17:18], 0.5
	v_fma_f64 v[21:22], v[17:18], s[14:15], s[12:13]
	s_mov_b32 s12, 0xa17f65f6
	s_mov_b32 s14, 0x19e83e5c
	;; [unrolled: 1-line block ×4, first 2 shown]
	v_mul_f64 v[29:30], v[1:2], -v[17:18]
	v_fma_f64 v[19:20], v[17:18], v[19:20], s[16:17]
	v_add_f64 v[25:26], -v[23:24], 1.0
	v_fma_f64 v[21:22], v[17:18], v[21:22], s[12:13]
	s_mov_b32 s12, 0x19f4ec90
	s_mov_b32 s13, 0x3efa01a0
	v_fma_f64 v[19:20], v[17:18], v[19:20], s[14:15]
	s_mov_b32 s14, 0x11110bb3
	s_mov_b32 s15, 0x3f811111
	v_add_f64 v[31:32], -v[25:26], 1.0
	v_fma_f64 v[21:22], v[17:18], v[21:22], s[12:13]
	s_mov_b32 s12, 0x16c16967
	s_mov_b32 s13, 0xbf56c16c
	v_fma_f64 v[19:20], v[17:18], v[19:20], s[14:15]
	v_add_f64 v[23:24], v[31:32], -v[23:24]
	v_fma_f64 v[21:22], v[17:18], v[21:22], s[12:13]
	s_mov_b32 s13, 0x3fa55555
	s_mov_b32 s12, 0x55555555
	v_fma_f64 v[19:20], v[29:30], v[19:20], v[27:28]
	v_mul_f64 v[27:28], v[17:18], v[17:18]
	v_fma_f64 v[23:24], v[1:2], -v[13:14], v[23:24]
	v_fma_f64 v[21:22], v[17:18], v[21:22], s[12:13]
	s_mov_b32 s13, 0xbfc55555
	v_fma_f64 v[13:14], v[17:18], v[19:20], -v[13:14]
	v_fma_f64 v[17:18], v[27:28], v[21:22], v[23:24]
	v_fma_f64 v[13:14], v[29:30], s[12:13], v[13:14]
	v_add_f64 v[17:18], v[25:26], v[17:18]
	v_add_f64 v[1:2], v[1:2], -v[13:14]
	v_and_b32_e32 v13, 1, v16
	v_cmp_eq_u32_e32 vcc_lo, 0, v13
	v_lshlrev_b32_e32 v13, 30, v16
	v_xor_b32_e32 v13, v13, v10
	v_and_b32_e32 v13, 0x80000000, v13
	v_cndmask_b32_e32 v2, v18, v2, vcc_lo
	v_cndmask_b32_e32 v1, v17, v1, vcc_lo
	v_xor_b32_e32 v2, v2, v13
	v_cndmask_b32_e64 v1, 0, v1, s0
	v_cndmask_b32_e64 v2, 0x7ff80000, v2, s0
	v_div_scale_f64 v[13:14], null, v[9:10], v[9:10], v[1:2]
	v_rcp_f64_e32 v[16:17], v[13:14]
	v_fma_f64 v[18:19], -v[13:14], v[16:17], 1.0
	v_fma_f64 v[16:17], v[16:17], v[18:19], v[16:17]
	v_fma_f64 v[18:19], -v[13:14], v[16:17], 1.0
	v_fma_f64 v[16:17], v[16:17], v[18:19], v[16:17]
	v_div_scale_f64 v[18:19], vcc_lo, v[1:2], v[9:10], v[1:2]
	v_mul_f64 v[20:21], v[18:19], v[16:17]
	v_fma_f64 v[13:14], -v[13:14], v[20:21], v[18:19]
	v_div_fmas_f64 v[13:14], v[13:14], v[16:17], v[20:21]
	v_div_fixup_f64 v[1:2], v[13:14], v[9:10], v[1:2]
.LBB1_8:
	s_andn2_saveexec_b32 s0, s3
	s_cbranch_execz .LBB1_10
; %bb.9:
	v_mul_f64 v[1:2], v[9:10], v[9:10]
	s_mov_b32 s12, 0x67f544e4
	s_mov_b32 s14, 0x13a86d09
	;; [unrolled: 1-line block ×4, first 2 shown]
	v_fma_f64 v[9:10], v[1:2], s[14:15], s[12:13]
	s_mov_b32 s12, 0xa556c734
	s_mov_b32 s13, 0x3ec71de3
	v_fma_f64 v[9:10], v[1:2], v[9:10], s[12:13]
	s_mov_b32 s12, 0x1a01a01a
	s_mov_b32 s13, 0xbf2a01a0
	v_fma_f64 v[9:10], v[1:2], v[9:10], s[12:13]
	s_mov_b32 s12, 0x11111111
	s_mov_b32 s13, 0x3f811111
	v_fma_f64 v[9:10], v[1:2], v[9:10], s[12:13]
	s_mov_b32 s12, 0x55555555
	s_mov_b32 s13, 0xbfc55555
	v_fma_f64 v[9:10], v[1:2], v[9:10], s[12:13]
	v_fma_f64 v[1:2], v[1:2], v[9:10], 1.0
.LBB1_10:
	s_or_b32 exec_lo, exec_lo, s0
.LBB1_11:
	s_or_b32 exec_lo, exec_lo, s1
	s_mov_b32 s1, exec_lo
	v_cmpx_neq_f64_e64 0x7ff00000, |v[11:12]|
	s_cbranch_execz .LBB1_21
; %bb.12:
	s_mov_b32 s3, exec_lo
	v_cmpx_nlt_f64_e64 |v[11:12]|, 0.5
	s_xor_b32 s3, exec_lo, s3
	s_cbranch_execz .LBB1_18
; %bb.13:
	v_cmp_ngt_f64_e64 s0, 0x41d00000, |v[11:12]|
                                        ; implicit-def: $vgpr13
                                        ; implicit-def: $vgpr3_vgpr4
                                        ; implicit-def: $vgpr9_vgpr10
	s_and_saveexec_b32 s7, s0
	s_xor_b32 s0, exec_lo, s7
	s_cbranch_execz .LBB1_15
; %bb.14:
	v_ldexp_f64 v[3:4], |v[11:12]|, 0xffffff80
	v_cmp_le_f64_e64 vcc_lo, 0x7b000000, |v[11:12]|
	v_trig_preop_f64 v[9:10], |v[11:12]|, 0
	v_and_b32_e32 v13, 0x7fffffff, v12
	v_trig_preop_f64 v[24:25], |v[11:12]|, 2
	v_mov_b32_e32 v32, 0
	s_mov_b32 s12, 0x54442d18
	s_mov_b32 s13, 0x3ff921fb
	;; [unrolled: 1-line block ×4, first 2 shown]
	v_cndmask_b32_e32 v4, v13, v4, vcc_lo
	v_cndmask_b32_e32 v3, v11, v3, vcc_lo
	v_trig_preop_f64 v[13:14], |v[11:12]|, 1
	v_mul_f64 v[16:17], v[9:10], v[3:4]
	v_mul_f64 v[30:31], v[24:25], v[3:4]
	v_mul_f64 v[18:19], v[13:14], v[3:4]
	v_fma_f64 v[9:10], v[9:10], v[3:4], -v[16:17]
	v_fma_f64 v[13:14], v[13:14], v[3:4], -v[18:19]
	;; [unrolled: 1-line block ×3, first 2 shown]
	v_add_f64 v[20:21], v[18:19], v[9:10]
	v_add_f64 v[22:23], v[20:21], -v[18:19]
	v_add_f64 v[28:29], v[16:17], v[20:21]
	v_add_f64 v[26:27], v[20:21], -v[22:23]
	v_add_f64 v[9:10], v[9:10], -v[22:23]
	v_ldexp_f64 v[22:23], v[28:29], -2
	v_add_f64 v[16:17], v[28:29], -v[16:17]
	v_add_f64 v[18:19], v[18:19], -v[26:27]
	v_add_f64 v[26:27], v[30:31], v[13:14]
	v_cmp_neq_f64_e64 vcc_lo, 0x7ff00000, |v[22:23]|
	v_add_f64 v[16:17], v[20:21], -v[16:17]
	v_add_f64 v[9:10], v[9:10], v[18:19]
	v_fract_f64_e32 v[18:19], v[22:23]
	v_add_f64 v[20:21], v[26:27], v[9:10]
	v_ldexp_f64 v[18:19], v[18:19], 2
	v_add_f64 v[22:23], v[16:17], v[20:21]
	v_cndmask_b32_e32 v19, 0, v19, vcc_lo
	v_cndmask_b32_e32 v18, 0, v18, vcc_lo
	v_add_f64 v[28:29], v[22:23], v[18:19]
	v_add_f64 v[16:17], v[22:23], -v[16:17]
	v_cmp_gt_f64_e32 vcc_lo, 0, v[28:29]
	v_add_f64 v[28:29], v[26:27], -v[30:31]
	v_cndmask_b32_e64 v33, 0, 0x40100000, vcc_lo
	v_add_f64 v[37:38], v[26:27], -v[28:29]
	v_add_f64 v[13:14], v[13:14], -v[28:29]
	v_add_f64 v[18:19], v[18:19], v[32:33]
	v_add_f64 v[33:34], v[20:21], -v[26:27]
	v_add_f64 v[28:29], v[30:31], -v[37:38]
	v_add_f64 v[35:36], v[22:23], v[18:19]
	;; [unrolled: 3-line block ×3, first 2 shown]
	v_cvt_i32_f64_e32 v35, v[35:36]
	v_add_f64 v[26:27], v[26:27], -v[39:40]
	v_cvt_f64_i32_e32 v[33:34], v35
	v_add_f64 v[9:10], v[9:10], v[26:27]
	v_add_f64 v[18:19], v[18:19], -v[33:34]
	v_add_f64 v[9:10], v[13:14], v[9:10]
	v_add_f64 v[13:14], v[20:21], -v[16:17]
	v_add_f64 v[24:25], v[22:23], v[18:19]
	v_add_f64 v[3:4], v[3:4], v[9:10]
	v_add_f64 v[9:10], v[24:25], -v[18:19]
	v_cmp_le_f64_e32 vcc_lo, 0.5, v[24:25]
	v_add_f64 v[3:4], v[13:14], v[3:4]
	v_add_f64 v[9:10], v[22:23], -v[9:10]
	v_cndmask_b32_e64 v33, 0, 0x3ff00000, vcc_lo
	v_add_co_ci_u32_e64 v13, null, 0, v35, vcc_lo
	v_add_f64 v[3:4], v[3:4], v[9:10]
	v_add_f64 v[9:10], v[24:25], -v[32:33]
	v_add_f64 v[16:17], v[9:10], v[3:4]
	v_mul_f64 v[18:19], v[16:17], s[12:13]
	v_add_f64 v[9:10], v[16:17], -v[9:10]
	v_fma_f64 v[20:21], v[16:17], s[12:13], -v[18:19]
	v_add_f64 v[3:4], v[3:4], -v[9:10]
	v_fma_f64 v[9:10], v[16:17], s[14:15], v[20:21]
	v_fma_f64 v[9:10], v[3:4], s[12:13], v[9:10]
	v_add_f64 v[3:4], v[18:19], v[9:10]
	v_add_f64 v[16:17], v[3:4], -v[18:19]
	v_add_f64 v[9:10], v[9:10], -v[16:17]
.LBB1_15:
	s_andn2_saveexec_b32 s0, s0
	s_cbranch_execz .LBB1_17
; %bb.16:
	s_mov_b32 s12, 0x6dc9c883
	s_mov_b32 s13, 0x3fe45f30
	s_mov_b32 s15, 0xbc91a626
	v_mul_f64 v[3:4], |v[11:12]|, s[12:13]
	s_mov_b32 s12, 0x54442d18
	s_mov_b32 s13, 0xbff921fb
	;; [unrolled: 1-line block ×3, first 2 shown]
	v_rndne_f64_e32 v[13:14], v[3:4]
	v_fma_f64 v[3:4], v[13:14], s[12:13], |v[11:12]|
	v_mul_f64 v[9:10], v[13:14], s[14:15]
	s_mov_b32 s12, 0x252049c0
	s_mov_b32 s13, 0xb97b839a
	v_fma_f64 v[18:19], v[13:14], s[14:15], v[3:4]
	v_add_f64 v[16:17], v[3:4], v[9:10]
	s_mov_b32 s15, 0x3c91a626
	v_add_f64 v[3:4], v[3:4], -v[16:17]
	v_add_f64 v[16:17], v[16:17], -v[18:19]
	v_add_f64 v[3:4], v[3:4], v[9:10]
	v_fma_f64 v[9:10], v[13:14], s[14:15], v[9:10]
	v_add_f64 v[3:4], v[16:17], v[3:4]
	v_add_f64 v[3:4], v[3:4], -v[9:10]
	v_fma_f64 v[9:10], v[13:14], s[12:13], v[3:4]
	v_cvt_i32_f64_e32 v13, v[13:14]
	v_add_f64 v[3:4], v[18:19], v[9:10]
	v_add_f64 v[16:17], v[3:4], -v[18:19]
	v_add_f64 v[9:10], v[9:10], -v[16:17]
.LBB1_17:
	s_or_b32 exec_lo, exec_lo, s0
	v_mul_f64 v[16:17], v[3:4], v[3:4]
	s_mov_b32 s12, 0xb42fdfa7
	s_mov_b32 s14, 0xf9a43bb8
	;; [unrolled: 1-line block ×6, first 2 shown]
	v_mul_f64 v[26:27], v[9:10], 0.5
	v_cmp_class_f64_e64 s0, v[11:12], 0x1f8
	v_fma_f64 v[18:19], v[16:17], s[14:15], s[12:13]
	s_mov_b32 s12, 0x9037ab78
	s_mov_b32 s14, 0x46cc5e42
	;; [unrolled: 1-line block ×4, first 2 shown]
	v_mul_f64 v[22:23], v[16:17], 0.5
	v_fma_f64 v[20:21], v[16:17], s[14:15], s[12:13]
	s_mov_b32 s12, 0xa17f65f6
	s_mov_b32 s14, 0x19e83e5c
	s_mov_b32 s13, 0xbe927e4f
	s_mov_b32 s15, 0xbf2a01a0
	v_mul_f64 v[28:29], v[3:4], -v[16:17]
	v_fma_f64 v[18:19], v[16:17], v[18:19], s[16:17]
	v_add_f64 v[24:25], -v[22:23], 1.0
	v_fma_f64 v[20:21], v[16:17], v[20:21], s[12:13]
	s_mov_b32 s12, 0x19f4ec90
	s_mov_b32 s13, 0x3efa01a0
	v_fma_f64 v[18:19], v[16:17], v[18:19], s[14:15]
	s_mov_b32 s14, 0x11110bb3
	s_mov_b32 s15, 0x3f811111
	v_add_f64 v[30:31], -v[24:25], 1.0
	v_fma_f64 v[20:21], v[16:17], v[20:21], s[12:13]
	s_mov_b32 s12, 0x16c16967
	s_mov_b32 s13, 0xbf56c16c
	v_fma_f64 v[18:19], v[16:17], v[18:19], s[14:15]
	v_add_f64 v[22:23], v[30:31], -v[22:23]
	v_fma_f64 v[20:21], v[16:17], v[20:21], s[12:13]
	s_mov_b32 s13, 0x3fa55555
	s_mov_b32 s12, 0x55555555
	v_fma_f64 v[18:19], v[28:29], v[18:19], v[26:27]
	v_mul_f64 v[26:27], v[16:17], v[16:17]
	v_fma_f64 v[22:23], v[3:4], -v[9:10], v[22:23]
	v_fma_f64 v[20:21], v[16:17], v[20:21], s[12:13]
	s_mov_b32 s13, 0xbfc55555
	v_fma_f64 v[9:10], v[16:17], v[18:19], -v[9:10]
	v_fma_f64 v[16:17], v[26:27], v[20:21], v[22:23]
	v_fma_f64 v[9:10], v[28:29], s[12:13], v[9:10]
	v_add_f64 v[16:17], v[24:25], v[16:17]
	v_add_f64 v[3:4], v[3:4], -v[9:10]
	v_and_b32_e32 v9, 1, v13
	v_cmp_eq_u32_e32 vcc_lo, 0, v9
	v_lshlrev_b32_e32 v9, 30, v13
	v_xor_b32_e32 v9, v9, v12
	v_and_b32_e32 v9, 0x80000000, v9
	v_cndmask_b32_e32 v4, v17, v4, vcc_lo
	v_cndmask_b32_e32 v3, v16, v3, vcc_lo
	v_xor_b32_e32 v4, v4, v9
	v_cndmask_b32_e64 v3, 0, v3, s0
	v_cndmask_b32_e64 v4, 0x7ff80000, v4, s0
	v_div_scale_f64 v[9:10], null, v[11:12], v[11:12], v[3:4]
	v_rcp_f64_e32 v[13:14], v[9:10]
	v_fma_f64 v[16:17], -v[9:10], v[13:14], 1.0
	v_fma_f64 v[13:14], v[13:14], v[16:17], v[13:14]
	v_fma_f64 v[16:17], -v[9:10], v[13:14], 1.0
	v_fma_f64 v[13:14], v[13:14], v[16:17], v[13:14]
	v_div_scale_f64 v[16:17], vcc_lo, v[3:4], v[11:12], v[3:4]
	v_mul_f64 v[18:19], v[16:17], v[13:14]
	v_fma_f64 v[9:10], -v[9:10], v[18:19], v[16:17]
	v_div_fmas_f64 v[9:10], v[9:10], v[13:14], v[18:19]
	v_div_fixup_f64 v[3:4], v[9:10], v[11:12], v[3:4]
                                        ; implicit-def: $vgpr11_vgpr12
.LBB1_18:
	s_andn2_saveexec_b32 s0, s3
	s_cbranch_execz .LBB1_20
; %bb.19:
	v_mul_f64 v[3:4], v[11:12], v[11:12]
	s_mov_b32 s12, 0x67f544e4
	s_mov_b32 s14, 0x13a86d09
	;; [unrolled: 1-line block ×4, first 2 shown]
	v_fma_f64 v[9:10], v[3:4], s[14:15], s[12:13]
	s_mov_b32 s12, 0xa556c734
	s_mov_b32 s13, 0x3ec71de3
	v_fma_f64 v[9:10], v[3:4], v[9:10], s[12:13]
	s_mov_b32 s12, 0x1a01a01a
	s_mov_b32 s13, 0xbf2a01a0
	v_fma_f64 v[9:10], v[3:4], v[9:10], s[12:13]
	s_mov_b32 s12, 0x11111111
	s_mov_b32 s13, 0x3f811111
	v_fma_f64 v[9:10], v[3:4], v[9:10], s[12:13]
	s_mov_b32 s12, 0x55555555
	s_mov_b32 s13, 0xbfc55555
	v_fma_f64 v[9:10], v[3:4], v[9:10], s[12:13]
	v_fma_f64 v[3:4], v[3:4], v[9:10], 1.0
.LBB1_20:
	s_or_b32 exec_lo, exec_lo, s0
.LBB1_21:
	s_or_b32 exec_lo, exec_lo, s1
	v_mov_b32_e32 v11, 0
	v_mov_b32_e32 v9, 0
	;; [unrolled: 1-line block ×4, first 2 shown]
	s_mov_b32 s1, exec_lo
	s_waitcnt vmcnt(0)
	v_cmpx_neq_f64_e64 0x7ff00000, |v[5:6]|
	s_cbranch_execz .LBB1_31
; %bb.22:
	s_mov_b32 s3, exec_lo
	v_cmpx_nlt_f64_e64 |v[5:6]|, 0.5
	s_xor_b32 s3, exec_lo, s3
	s_cbranch_execz .LBB1_28
; %bb.23:
	v_cmp_ngt_f64_e64 s0, 0x41d00000, |v[5:6]|
                                        ; implicit-def: $vgpr16
                                        ; implicit-def: $vgpr9_vgpr10
                                        ; implicit-def: $vgpr13_vgpr14
	s_and_saveexec_b32 s7, s0
	s_xor_b32 s0, exec_lo, s7
	s_cbranch_execz .LBB1_25
; %bb.24:
	v_ldexp_f64 v[9:10], |v[5:6]|, 0xffffff80
	v_cmp_le_f64_e64 vcc_lo, 0x7b000000, |v[5:6]|
	v_trig_preop_f64 v[13:14], |v[5:6]|, 0
	v_and_b32_e32 v16, 0x7fffffff, v6
	v_trig_preop_f64 v[26:27], |v[5:6]|, 2
	v_mov_b32_e32 v34, 0
	s_mov_b32 s12, 0x54442d18
	s_mov_b32 s13, 0x3ff921fb
	;; [unrolled: 1-line block ×4, first 2 shown]
	v_cndmask_b32_e32 v10, v16, v10, vcc_lo
	v_cndmask_b32_e32 v9, v5, v9, vcc_lo
	v_trig_preop_f64 v[16:17], |v[5:6]|, 1
	v_mul_f64 v[18:19], v[13:14], v[9:10]
	v_mul_f64 v[32:33], v[26:27], v[9:10]
	;; [unrolled: 1-line block ×3, first 2 shown]
	v_fma_f64 v[13:14], v[13:14], v[9:10], -v[18:19]
	v_fma_f64 v[16:17], v[16:17], v[9:10], -v[20:21]
	v_fma_f64 v[9:10], v[26:27], v[9:10], -v[32:33]
	v_add_f64 v[22:23], v[20:21], v[13:14]
	v_add_f64 v[24:25], v[22:23], -v[20:21]
	v_add_f64 v[30:31], v[18:19], v[22:23]
	v_add_f64 v[28:29], v[22:23], -v[24:25]
	v_add_f64 v[13:14], v[13:14], -v[24:25]
	v_ldexp_f64 v[24:25], v[30:31], -2
	v_add_f64 v[18:19], v[30:31], -v[18:19]
	v_add_f64 v[20:21], v[20:21], -v[28:29]
	v_add_f64 v[28:29], v[32:33], v[16:17]
	v_cmp_neq_f64_e64 vcc_lo, 0x7ff00000, |v[24:25]|
	v_add_f64 v[18:19], v[22:23], -v[18:19]
	v_add_f64 v[13:14], v[13:14], v[20:21]
	v_fract_f64_e32 v[20:21], v[24:25]
	v_add_f64 v[22:23], v[28:29], v[13:14]
	v_ldexp_f64 v[20:21], v[20:21], 2
	v_add_f64 v[24:25], v[18:19], v[22:23]
	v_cndmask_b32_e32 v21, 0, v21, vcc_lo
	v_cndmask_b32_e32 v20, 0, v20, vcc_lo
	v_add_f64 v[30:31], v[24:25], v[20:21]
	v_add_f64 v[18:19], v[24:25], -v[18:19]
	v_cmp_gt_f64_e32 vcc_lo, 0, v[30:31]
	v_add_f64 v[30:31], v[28:29], -v[32:33]
	v_cndmask_b32_e64 v35, 0, 0x40100000, vcc_lo
	v_add_f64 v[39:40], v[28:29], -v[30:31]
	v_add_f64 v[16:17], v[16:17], -v[30:31]
	v_add_f64 v[20:21], v[20:21], v[34:35]
	v_add_f64 v[35:36], v[22:23], -v[28:29]
	v_add_f64 v[30:31], v[32:33], -v[39:40]
	v_add_f64 v[37:38], v[24:25], v[20:21]
	;; [unrolled: 3-line block ×3, first 2 shown]
	v_cvt_i32_f64_e32 v37, v[37:38]
	v_add_f64 v[28:29], v[28:29], -v[41:42]
	v_cvt_f64_i32_e32 v[35:36], v37
	v_add_f64 v[13:14], v[13:14], v[28:29]
	v_add_f64 v[20:21], v[20:21], -v[35:36]
	v_add_f64 v[13:14], v[16:17], v[13:14]
	v_add_f64 v[16:17], v[22:23], -v[18:19]
	v_add_f64 v[26:27], v[24:25], v[20:21]
	v_add_f64 v[9:10], v[9:10], v[13:14]
	v_add_f64 v[13:14], v[26:27], -v[20:21]
	v_cmp_le_f64_e32 vcc_lo, 0.5, v[26:27]
	v_add_f64 v[9:10], v[16:17], v[9:10]
	v_add_f64 v[13:14], v[24:25], -v[13:14]
	v_cndmask_b32_e64 v35, 0, 0x3ff00000, vcc_lo
	v_add_co_ci_u32_e64 v16, null, 0, v37, vcc_lo
	v_add_f64 v[9:10], v[9:10], v[13:14]
	v_add_f64 v[13:14], v[26:27], -v[34:35]
	v_add_f64 v[17:18], v[13:14], v[9:10]
	v_mul_f64 v[19:20], v[17:18], s[12:13]
	v_add_f64 v[13:14], v[17:18], -v[13:14]
	v_fma_f64 v[21:22], v[17:18], s[12:13], -v[19:20]
	v_add_f64 v[9:10], v[9:10], -v[13:14]
	v_fma_f64 v[13:14], v[17:18], s[14:15], v[21:22]
	v_fma_f64 v[13:14], v[9:10], s[12:13], v[13:14]
	v_add_f64 v[9:10], v[19:20], v[13:14]
	v_add_f64 v[17:18], v[9:10], -v[19:20]
	v_add_f64 v[13:14], v[13:14], -v[17:18]
.LBB1_25:
	s_andn2_saveexec_b32 s0, s0
	s_cbranch_execz .LBB1_27
; %bb.26:
	s_mov_b32 s12, 0x6dc9c883
	s_mov_b32 s13, 0x3fe45f30
	;; [unrolled: 1-line block ×3, first 2 shown]
	v_mul_f64 v[9:10], |v[5:6]|, s[12:13]
	s_mov_b32 s12, 0x54442d18
	s_mov_b32 s13, 0xbff921fb
	;; [unrolled: 1-line block ×3, first 2 shown]
	v_rndne_f64_e32 v[16:17], v[9:10]
	v_fma_f64 v[9:10], v[16:17], s[12:13], |v[5:6]|
	v_mul_f64 v[13:14], v[16:17], s[14:15]
	s_mov_b32 s12, 0x252049c0
	s_mov_b32 s13, 0xb97b839a
	v_fma_f64 v[20:21], v[16:17], s[14:15], v[9:10]
	v_add_f64 v[18:19], v[9:10], v[13:14]
	s_mov_b32 s15, 0x3c91a626
	v_add_f64 v[9:10], v[9:10], -v[18:19]
	v_add_f64 v[18:19], v[18:19], -v[20:21]
	v_add_f64 v[9:10], v[9:10], v[13:14]
	v_fma_f64 v[13:14], v[16:17], s[14:15], v[13:14]
	v_add_f64 v[9:10], v[18:19], v[9:10]
	v_add_f64 v[9:10], v[9:10], -v[13:14]
	v_fma_f64 v[13:14], v[16:17], s[12:13], v[9:10]
	v_cvt_i32_f64_e32 v16, v[16:17]
	v_add_f64 v[9:10], v[20:21], v[13:14]
	v_add_f64 v[18:19], v[9:10], -v[20:21]
	v_add_f64 v[13:14], v[13:14], -v[18:19]
.LBB1_27:
	s_or_b32 exec_lo, exec_lo, s0
	v_mul_f64 v[17:18], v[9:10], v[9:10]
	s_mov_b32 s12, 0xb42fdfa7
	s_mov_b32 s14, 0xf9a43bb8
	;; [unrolled: 1-line block ×6, first 2 shown]
	v_mul_f64 v[27:28], v[13:14], 0.5
	v_cmp_class_f64_e64 s0, v[5:6], 0x1f8
	v_fma_f64 v[19:20], v[17:18], s[14:15], s[12:13]
	s_mov_b32 s12, 0x9037ab78
	s_mov_b32 s14, 0x46cc5e42
	;; [unrolled: 1-line block ×4, first 2 shown]
	v_mul_f64 v[23:24], v[17:18], 0.5
	v_fma_f64 v[21:22], v[17:18], s[14:15], s[12:13]
	s_mov_b32 s12, 0xa17f65f6
	s_mov_b32 s14, 0x19e83e5c
	;; [unrolled: 1-line block ×4, first 2 shown]
	v_mul_f64 v[29:30], v[9:10], -v[17:18]
	v_fma_f64 v[19:20], v[17:18], v[19:20], s[16:17]
	v_add_f64 v[25:26], -v[23:24], 1.0
	v_fma_f64 v[21:22], v[17:18], v[21:22], s[12:13]
	s_mov_b32 s12, 0x19f4ec90
	s_mov_b32 s13, 0x3efa01a0
	v_fma_f64 v[19:20], v[17:18], v[19:20], s[14:15]
	s_mov_b32 s14, 0x11110bb3
	s_mov_b32 s15, 0x3f811111
	v_add_f64 v[31:32], -v[25:26], 1.0
	v_fma_f64 v[21:22], v[17:18], v[21:22], s[12:13]
	s_mov_b32 s12, 0x16c16967
	s_mov_b32 s13, 0xbf56c16c
	v_fma_f64 v[19:20], v[17:18], v[19:20], s[14:15]
	v_add_f64 v[23:24], v[31:32], -v[23:24]
	v_fma_f64 v[21:22], v[17:18], v[21:22], s[12:13]
	s_mov_b32 s13, 0x3fa55555
	s_mov_b32 s12, 0x55555555
	v_fma_f64 v[19:20], v[29:30], v[19:20], v[27:28]
	v_mul_f64 v[27:28], v[17:18], v[17:18]
	v_fma_f64 v[23:24], v[9:10], -v[13:14], v[23:24]
	v_fma_f64 v[21:22], v[17:18], v[21:22], s[12:13]
	s_mov_b32 s13, 0xbfc55555
	v_fma_f64 v[13:14], v[17:18], v[19:20], -v[13:14]
	v_fma_f64 v[17:18], v[27:28], v[21:22], v[23:24]
	v_fma_f64 v[13:14], v[29:30], s[12:13], v[13:14]
	v_add_f64 v[17:18], v[25:26], v[17:18]
	v_add_f64 v[9:10], v[9:10], -v[13:14]
	v_and_b32_e32 v13, 1, v16
	v_cmp_eq_u32_e32 vcc_lo, 0, v13
	v_lshlrev_b32_e32 v13, 30, v16
	v_xor_b32_e32 v13, v13, v6
	v_and_b32_e32 v13, 0x80000000, v13
	v_cndmask_b32_e32 v10, v18, v10, vcc_lo
	v_cndmask_b32_e32 v9, v17, v9, vcc_lo
	v_xor_b32_e32 v10, v10, v13
	v_cndmask_b32_e64 v9, 0, v9, s0
	v_cndmask_b32_e64 v10, 0x7ff80000, v10, s0
	v_div_scale_f64 v[13:14], null, v[5:6], v[5:6], v[9:10]
	v_rcp_f64_e32 v[16:17], v[13:14]
	v_fma_f64 v[18:19], -v[13:14], v[16:17], 1.0
	v_fma_f64 v[16:17], v[16:17], v[18:19], v[16:17]
	v_fma_f64 v[18:19], -v[13:14], v[16:17], 1.0
	v_fma_f64 v[16:17], v[16:17], v[18:19], v[16:17]
	v_div_scale_f64 v[18:19], vcc_lo, v[9:10], v[5:6], v[9:10]
	v_mul_f64 v[20:21], v[18:19], v[16:17]
	v_fma_f64 v[13:14], -v[13:14], v[20:21], v[18:19]
	v_div_fmas_f64 v[13:14], v[13:14], v[16:17], v[20:21]
	v_div_fixup_f64 v[9:10], v[13:14], v[5:6], v[9:10]
.LBB1_28:
	s_andn2_saveexec_b32 s0, s3
	s_cbranch_execz .LBB1_30
; %bb.29:
	v_mul_f64 v[5:6], v[5:6], v[5:6]
	s_mov_b32 s12, 0x67f544e4
	s_mov_b32 s14, 0x13a86d09
	;; [unrolled: 1-line block ×4, first 2 shown]
	v_fma_f64 v[9:10], v[5:6], s[14:15], s[12:13]
	s_mov_b32 s12, 0xa556c734
	s_mov_b32 s13, 0x3ec71de3
	v_fma_f64 v[9:10], v[5:6], v[9:10], s[12:13]
	s_mov_b32 s12, 0x1a01a01a
	s_mov_b32 s13, 0xbf2a01a0
	;; [unrolled: 3-line block ×4, first 2 shown]
	v_fma_f64 v[9:10], v[5:6], v[9:10], s[12:13]
	v_fma_f64 v[9:10], v[5:6], v[9:10], 1.0
.LBB1_30:
	s_or_b32 exec_lo, exec_lo, s0
.LBB1_31:
	s_or_b32 exec_lo, exec_lo, s1
	s_mov_b32 s1, exec_lo
	v_cmpx_neq_f64_e64 0x7ff00000, |v[7:8]|
	s_cbranch_execz .LBB1_41
; %bb.32:
	s_mov_b32 s3, exec_lo
	v_cmpx_nlt_f64_e64 |v[7:8]|, 0.5
	s_xor_b32 s3, exec_lo, s3
	s_cbranch_execz .LBB1_38
; %bb.33:
	v_cmp_ngt_f64_e64 s0, 0x41d00000, |v[7:8]|
                                        ; implicit-def: $vgpr13
                                        ; implicit-def: $vgpr5_vgpr6
                                        ; implicit-def: $vgpr11_vgpr12
	s_and_saveexec_b32 s7, s0
	s_xor_b32 s0, exec_lo, s7
	s_cbranch_execz .LBB1_35
; %bb.34:
	v_ldexp_f64 v[5:6], |v[7:8]|, 0xffffff80
	v_cmp_le_f64_e64 vcc_lo, 0x7b000000, |v[7:8]|
	v_trig_preop_f64 v[11:12], |v[7:8]|, 0
	v_and_b32_e32 v13, 0x7fffffff, v8
	v_trig_preop_f64 v[24:25], |v[7:8]|, 2
	v_mov_b32_e32 v32, 0
	s_mov_b32 s12, 0x54442d18
	s_mov_b32 s13, 0x3ff921fb
	;; [unrolled: 1-line block ×4, first 2 shown]
	v_cndmask_b32_e32 v6, v13, v6, vcc_lo
	v_cndmask_b32_e32 v5, v7, v5, vcc_lo
	v_trig_preop_f64 v[13:14], |v[7:8]|, 1
	v_mul_f64 v[16:17], v[11:12], v[5:6]
	v_mul_f64 v[30:31], v[24:25], v[5:6]
	;; [unrolled: 1-line block ×3, first 2 shown]
	v_fma_f64 v[11:12], v[11:12], v[5:6], -v[16:17]
	v_fma_f64 v[13:14], v[13:14], v[5:6], -v[18:19]
	;; [unrolled: 1-line block ×3, first 2 shown]
	v_add_f64 v[20:21], v[18:19], v[11:12]
	v_add_f64 v[22:23], v[20:21], -v[18:19]
	v_add_f64 v[28:29], v[16:17], v[20:21]
	v_add_f64 v[26:27], v[20:21], -v[22:23]
	v_add_f64 v[11:12], v[11:12], -v[22:23]
	v_ldexp_f64 v[22:23], v[28:29], -2
	v_add_f64 v[16:17], v[28:29], -v[16:17]
	v_add_f64 v[18:19], v[18:19], -v[26:27]
	v_add_f64 v[26:27], v[30:31], v[13:14]
	v_cmp_neq_f64_e64 vcc_lo, 0x7ff00000, |v[22:23]|
	v_add_f64 v[16:17], v[20:21], -v[16:17]
	v_add_f64 v[11:12], v[11:12], v[18:19]
	v_fract_f64_e32 v[18:19], v[22:23]
	v_add_f64 v[20:21], v[26:27], v[11:12]
	v_ldexp_f64 v[18:19], v[18:19], 2
	v_add_f64 v[22:23], v[16:17], v[20:21]
	v_cndmask_b32_e32 v19, 0, v19, vcc_lo
	v_cndmask_b32_e32 v18, 0, v18, vcc_lo
	v_add_f64 v[28:29], v[22:23], v[18:19]
	v_add_f64 v[16:17], v[22:23], -v[16:17]
	v_cmp_gt_f64_e32 vcc_lo, 0, v[28:29]
	v_add_f64 v[28:29], v[26:27], -v[30:31]
	v_cndmask_b32_e64 v33, 0, 0x40100000, vcc_lo
	v_add_f64 v[37:38], v[26:27], -v[28:29]
	v_add_f64 v[13:14], v[13:14], -v[28:29]
	v_add_f64 v[18:19], v[18:19], v[32:33]
	v_add_f64 v[33:34], v[20:21], -v[26:27]
	v_add_f64 v[28:29], v[30:31], -v[37:38]
	v_add_f64 v[35:36], v[22:23], v[18:19]
	;; [unrolled: 3-line block ×3, first 2 shown]
	v_cvt_i32_f64_e32 v35, v[35:36]
	v_add_f64 v[26:27], v[26:27], -v[39:40]
	v_cvt_f64_i32_e32 v[33:34], v35
	v_add_f64 v[11:12], v[11:12], v[26:27]
	v_add_f64 v[18:19], v[18:19], -v[33:34]
	v_add_f64 v[11:12], v[13:14], v[11:12]
	v_add_f64 v[13:14], v[20:21], -v[16:17]
	v_add_f64 v[24:25], v[22:23], v[18:19]
	v_add_f64 v[5:6], v[5:6], v[11:12]
	v_add_f64 v[11:12], v[24:25], -v[18:19]
	v_cmp_le_f64_e32 vcc_lo, 0.5, v[24:25]
	v_add_f64 v[5:6], v[13:14], v[5:6]
	v_add_f64 v[11:12], v[22:23], -v[11:12]
	v_cndmask_b32_e64 v33, 0, 0x3ff00000, vcc_lo
	v_add_co_ci_u32_e64 v13, null, 0, v35, vcc_lo
	v_add_f64 v[5:6], v[5:6], v[11:12]
	v_add_f64 v[11:12], v[24:25], -v[32:33]
	v_add_f64 v[16:17], v[11:12], v[5:6]
	v_mul_f64 v[18:19], v[16:17], s[12:13]
	v_add_f64 v[11:12], v[16:17], -v[11:12]
	v_fma_f64 v[20:21], v[16:17], s[12:13], -v[18:19]
	v_add_f64 v[5:6], v[5:6], -v[11:12]
	v_fma_f64 v[11:12], v[16:17], s[14:15], v[20:21]
	v_fma_f64 v[11:12], v[5:6], s[12:13], v[11:12]
	v_add_f64 v[5:6], v[18:19], v[11:12]
	v_add_f64 v[16:17], v[5:6], -v[18:19]
	v_add_f64 v[11:12], v[11:12], -v[16:17]
.LBB1_35:
	s_andn2_saveexec_b32 s0, s0
	s_cbranch_execz .LBB1_37
; %bb.36:
	s_mov_b32 s12, 0x6dc9c883
	s_mov_b32 s13, 0x3fe45f30
	;; [unrolled: 1-line block ×3, first 2 shown]
	v_mul_f64 v[5:6], |v[7:8]|, s[12:13]
	s_mov_b32 s12, 0x54442d18
	s_mov_b32 s13, 0xbff921fb
	;; [unrolled: 1-line block ×3, first 2 shown]
	v_rndne_f64_e32 v[13:14], v[5:6]
	v_fma_f64 v[5:6], v[13:14], s[12:13], |v[7:8]|
	v_mul_f64 v[11:12], v[13:14], s[14:15]
	s_mov_b32 s12, 0x252049c0
	s_mov_b32 s13, 0xb97b839a
	v_fma_f64 v[18:19], v[13:14], s[14:15], v[5:6]
	v_add_f64 v[16:17], v[5:6], v[11:12]
	s_mov_b32 s15, 0x3c91a626
	v_add_f64 v[5:6], v[5:6], -v[16:17]
	v_add_f64 v[16:17], v[16:17], -v[18:19]
	v_add_f64 v[5:6], v[5:6], v[11:12]
	v_fma_f64 v[11:12], v[13:14], s[14:15], v[11:12]
	v_add_f64 v[5:6], v[16:17], v[5:6]
	v_add_f64 v[5:6], v[5:6], -v[11:12]
	v_fma_f64 v[11:12], v[13:14], s[12:13], v[5:6]
	v_cvt_i32_f64_e32 v13, v[13:14]
	v_add_f64 v[5:6], v[18:19], v[11:12]
	v_add_f64 v[16:17], v[5:6], -v[18:19]
	v_add_f64 v[11:12], v[11:12], -v[16:17]
.LBB1_37:
	s_or_b32 exec_lo, exec_lo, s0
	v_mul_f64 v[16:17], v[5:6], v[5:6]
	s_mov_b32 s12, 0xb42fdfa7
	s_mov_b32 s14, 0xf9a43bb8
	;; [unrolled: 1-line block ×6, first 2 shown]
	v_mul_f64 v[26:27], v[11:12], 0.5
	v_cmp_class_f64_e64 s0, v[7:8], 0x1f8
	v_fma_f64 v[18:19], v[16:17], s[14:15], s[12:13]
	s_mov_b32 s12, 0x9037ab78
	s_mov_b32 s14, 0x46cc5e42
	;; [unrolled: 1-line block ×4, first 2 shown]
	v_mul_f64 v[22:23], v[16:17], 0.5
	v_fma_f64 v[20:21], v[16:17], s[14:15], s[12:13]
	s_mov_b32 s12, 0xa17f65f6
	s_mov_b32 s14, 0x19e83e5c
	;; [unrolled: 1-line block ×4, first 2 shown]
	v_mul_f64 v[28:29], v[5:6], -v[16:17]
	v_fma_f64 v[18:19], v[16:17], v[18:19], s[16:17]
	v_add_f64 v[24:25], -v[22:23], 1.0
	v_fma_f64 v[20:21], v[16:17], v[20:21], s[12:13]
	s_mov_b32 s12, 0x19f4ec90
	s_mov_b32 s13, 0x3efa01a0
	v_fma_f64 v[18:19], v[16:17], v[18:19], s[14:15]
	s_mov_b32 s14, 0x11110bb3
	s_mov_b32 s15, 0x3f811111
	v_add_f64 v[30:31], -v[24:25], 1.0
	v_fma_f64 v[20:21], v[16:17], v[20:21], s[12:13]
	s_mov_b32 s12, 0x16c16967
	s_mov_b32 s13, 0xbf56c16c
	v_fma_f64 v[18:19], v[16:17], v[18:19], s[14:15]
	v_add_f64 v[22:23], v[30:31], -v[22:23]
	v_fma_f64 v[20:21], v[16:17], v[20:21], s[12:13]
	s_mov_b32 s13, 0x3fa55555
	s_mov_b32 s12, 0x55555555
	v_fma_f64 v[18:19], v[28:29], v[18:19], v[26:27]
	v_mul_f64 v[26:27], v[16:17], v[16:17]
	v_fma_f64 v[22:23], v[5:6], -v[11:12], v[22:23]
	v_fma_f64 v[20:21], v[16:17], v[20:21], s[12:13]
	s_mov_b32 s13, 0xbfc55555
	v_fma_f64 v[11:12], v[16:17], v[18:19], -v[11:12]
	v_fma_f64 v[16:17], v[26:27], v[20:21], v[22:23]
	v_fma_f64 v[11:12], v[28:29], s[12:13], v[11:12]
	v_add_f64 v[16:17], v[24:25], v[16:17]
	v_add_f64 v[5:6], v[5:6], -v[11:12]
	v_and_b32_e32 v11, 1, v13
	v_cmp_eq_u32_e32 vcc_lo, 0, v11
	v_lshlrev_b32_e32 v11, 30, v13
	v_xor_b32_e32 v11, v11, v8
	v_and_b32_e32 v11, 0x80000000, v11
	v_cndmask_b32_e32 v6, v17, v6, vcc_lo
	v_cndmask_b32_e32 v5, v16, v5, vcc_lo
	v_xor_b32_e32 v6, v6, v11
	v_cndmask_b32_e64 v5, 0, v5, s0
	v_cndmask_b32_e64 v6, 0x7ff80000, v6, s0
	v_div_scale_f64 v[11:12], null, v[7:8], v[7:8], v[5:6]
	v_rcp_f64_e32 v[13:14], v[11:12]
	v_fma_f64 v[16:17], -v[11:12], v[13:14], 1.0
	v_fma_f64 v[13:14], v[13:14], v[16:17], v[13:14]
	v_fma_f64 v[16:17], -v[11:12], v[13:14], 1.0
	v_fma_f64 v[13:14], v[13:14], v[16:17], v[13:14]
	v_div_scale_f64 v[16:17], vcc_lo, v[5:6], v[7:8], v[5:6]
	v_mul_f64 v[18:19], v[16:17], v[13:14]
	v_fma_f64 v[11:12], -v[11:12], v[18:19], v[16:17]
	v_div_fmas_f64 v[11:12], v[11:12], v[13:14], v[18:19]
	v_div_fixup_f64 v[11:12], v[11:12], v[7:8], v[5:6]
                                        ; implicit-def: $vgpr7_vgpr8
.LBB1_38:
	s_andn2_saveexec_b32 s0, s3
	s_cbranch_execz .LBB1_40
; %bb.39:
	v_mul_f64 v[5:6], v[7:8], v[7:8]
	s_mov_b32 s12, 0x67f544e4
	s_mov_b32 s14, 0x13a86d09
	;; [unrolled: 1-line block ×4, first 2 shown]
	v_fma_f64 v[7:8], v[5:6], s[14:15], s[12:13]
	s_mov_b32 s12, 0xa556c734
	s_mov_b32 s13, 0x3ec71de3
	v_fma_f64 v[7:8], v[5:6], v[7:8], s[12:13]
	s_mov_b32 s12, 0x1a01a01a
	s_mov_b32 s13, 0xbf2a01a0
	;; [unrolled: 3-line block ×4, first 2 shown]
	v_fma_f64 v[7:8], v[5:6], v[7:8], s[12:13]
	v_fma_f64 v[11:12], v[5:6], v[7:8], 1.0
.LBB1_40:
	s_or_b32 exec_lo, exec_lo, s0
.LBB1_41:
	s_or_b32 exec_lo, exec_lo, s1
	s_add_u32 s4, s8, s4
	s_addc_u32 s5, s9, s5
	s_mov_b32 s0, 0
	global_store_dwordx4 v15, v[1:4], s[4:5]
	global_store_dwordx4 v15, v[9:12], s[4:5] offset:16
.LBB1_42:
	s_and_b32 vcc_lo, exec_lo, s0
	s_cbranch_vccz .LBB1_93
; %bb.43:
	v_mov_b32_e32 v14, 0
	v_mov_b32_e32 v16, 0
	v_cmp_gt_i32_e64 s0, s6, v0
	v_mov_b32_e32 v15, 0
	v_or_b32_e32 v1, s2, v0
	v_or_b32_e32 v18, 0x100, v0
	v_mov_b32_e32 v17, 0
	v_mov_b32_e32 v4, v0
	s_and_saveexec_b32 s1, s0
	s_cbranch_execz .LBB1_45
; %bb.44:
	v_mov_b32_e32 v2, 0
	v_or_b32_e32 v4, 0x100, v0
	v_lshlrev_b64 v[2:3], 3, v[1:2]
	v_add_co_u32 v2, vcc_lo, s10, v2
	v_add_co_ci_u32_e64 v3, null, s11, v3, vcc_lo
	global_load_dwordx2 v[16:17], v[2:3], off
.LBB1_45:
	s_or_b32 exec_lo, exec_lo, s1
	s_mov_b32 s1, exec_lo
	v_cmpx_gt_i32_e64 s6, v4
	s_cbranch_execz .LBB1_47
; %bb.46:
	v_add_nc_u32_e32 v2, s2, v4
	v_mov_b32_e32 v3, 0
	v_add_nc_u32_e32 v4, 0x100, v4
	v_lshlrev_b64 v[2:3], 3, v[2:3]
	v_add_co_u32 v2, vcc_lo, s10, v2
	v_add_co_ci_u32_e64 v3, null, s11, v3, vcc_lo
	global_load_dwordx2 v[14:15], v[2:3], off
.LBB1_47:
	s_or_b32 exec_lo, exec_lo, s1
	v_mov_b32_e32 v2, 0
	v_mov_b32_e32 v6, 0
	v_mov_b32_e32 v3, 0
	v_mov_b32_e32 v7, 0
	s_mov_b32 s1, exec_lo
	v_cmpx_gt_i32_e64 s6, v4
	s_cbranch_execz .LBB1_49
; %bb.48:
	v_add_nc_u32_e32 v5, s2, v4
	v_mov_b32_e32 v6, 0
	v_add_nc_u32_e32 v4, 0x100, v4
	v_lshlrev_b64 v[5:6], 3, v[5:6]
	v_add_co_u32 v5, vcc_lo, s10, v5
	v_add_co_ci_u32_e64 v6, null, s11, v6, vcc_lo
	global_load_dwordx2 v[6:7], v[5:6], off
.LBB1_49:
	s_or_b32 exec_lo, exec_lo, s1
	s_mov_b32 s1, exec_lo
	v_cmpx_gt_i32_e64 s6, v4
	s_cbranch_execz .LBB1_51
; %bb.50:
	v_add_nc_u32_e32 v2, s2, v4
	v_mov_b32_e32 v3, 0
	v_lshlrev_b64 v[2:3], 3, v[2:3]
	v_add_co_u32 v2, vcc_lo, s10, v2
	v_add_co_ci_u32_e64 v3, null, s11, v3, vcc_lo
	global_load_dwordx2 v[2:3], v[2:3], off
.LBB1_51:
	s_or_b32 exec_lo, exec_lo, s1
	v_mov_b32_e32 v4, 0
	v_mov_b32_e32 v5, v4
	;; [unrolled: 1-line block ×8, first 2 shown]
	s_and_saveexec_b32 s3, s0
	s_cbranch_execz .LBB1_63
; %bb.52:
	v_mov_b32_e32 v4, 0
	v_mov_b32_e32 v5, 0
	s_mov_b32 s4, exec_lo
	s_waitcnt vmcnt(0)
	v_cmpx_neq_f64_e64 0x7ff00000, |v[16:17]|
	s_cbranch_execz .LBB1_62
; %bb.53:
	s_mov_b32 s5, exec_lo
                                        ; implicit-def: $vgpr4_vgpr5
	v_cmpx_nlt_f64_e64 |v[16:17]|, 0.5
	s_xor_b32 s5, exec_lo, s5
	s_cbranch_execz .LBB1_59
; %bb.54:
	v_cmp_ngt_f64_e64 s1, 0x41d00000, |v[16:17]|
                                        ; implicit-def: $vgpr10
                                        ; implicit-def: $vgpr4_vgpr5
                                        ; implicit-def: $vgpr8_vgpr9
	s_and_saveexec_b32 s7, s1
	s_xor_b32 s1, exec_lo, s7
	s_cbranch_execz .LBB1_56
; %bb.55:
	v_ldexp_f64 v[4:5], |v[16:17]|, 0xffffff80
	v_cmp_le_f64_e64 vcc_lo, 0x7b000000, |v[16:17]|
	v_trig_preop_f64 v[8:9], |v[16:17]|, 0
	v_and_b32_e32 v10, 0x7fffffff, v17
	v_trig_preop_f64 v[25:26], |v[16:17]|, 2
	v_mov_b32_e32 v33, 0
	s_mov_b32 s10, 0x54442d18
	s_mov_b32 s11, 0x3ff921fb
	;; [unrolled: 1-line block ×4, first 2 shown]
	v_cndmask_b32_e32 v5, v10, v5, vcc_lo
	v_cndmask_b32_e32 v4, v16, v4, vcc_lo
	v_trig_preop_f64 v[10:11], |v[16:17]|, 1
	v_mul_f64 v[12:13], v[8:9], v[4:5]
	v_mul_f64 v[31:32], v[25:26], v[4:5]
	;; [unrolled: 1-line block ×3, first 2 shown]
	v_fma_f64 v[8:9], v[8:9], v[4:5], -v[12:13]
	v_fma_f64 v[10:11], v[10:11], v[4:5], -v[19:20]
	;; [unrolled: 1-line block ×3, first 2 shown]
	v_add_f64 v[21:22], v[19:20], v[8:9]
	v_add_f64 v[23:24], v[21:22], -v[19:20]
	v_add_f64 v[29:30], v[12:13], v[21:22]
	v_add_f64 v[27:28], v[21:22], -v[23:24]
	v_add_f64 v[8:9], v[8:9], -v[23:24]
	v_ldexp_f64 v[23:24], v[29:30], -2
	v_add_f64 v[12:13], v[29:30], -v[12:13]
	v_add_f64 v[19:20], v[19:20], -v[27:28]
	v_add_f64 v[27:28], v[31:32], v[10:11]
	v_cmp_neq_f64_e64 vcc_lo, 0x7ff00000, |v[23:24]|
	v_add_f64 v[12:13], v[21:22], -v[12:13]
	v_add_f64 v[8:9], v[8:9], v[19:20]
	v_fract_f64_e32 v[19:20], v[23:24]
	v_add_f64 v[21:22], v[27:28], v[8:9]
	v_ldexp_f64 v[19:20], v[19:20], 2
	v_add_f64 v[23:24], v[12:13], v[21:22]
	v_cndmask_b32_e32 v20, 0, v20, vcc_lo
	v_cndmask_b32_e32 v19, 0, v19, vcc_lo
	v_add_f64 v[29:30], v[23:24], v[19:20]
	v_add_f64 v[12:13], v[23:24], -v[12:13]
	v_cmp_gt_f64_e32 vcc_lo, 0, v[29:30]
	v_add_f64 v[29:30], v[27:28], -v[31:32]
	v_cndmask_b32_e64 v34, 0, 0x40100000, vcc_lo
	v_add_f64 v[38:39], v[27:28], -v[29:30]
	v_add_f64 v[10:11], v[10:11], -v[29:30]
	v_add_f64 v[19:20], v[19:20], v[33:34]
	v_add_f64 v[34:35], v[21:22], -v[27:28]
	v_add_f64 v[29:30], v[31:32], -v[38:39]
	v_add_f64 v[36:37], v[23:24], v[19:20]
	;; [unrolled: 3-line block ×3, first 2 shown]
	v_cvt_i32_f64_e32 v36, v[36:37]
	v_add_f64 v[27:28], v[27:28], -v[40:41]
	v_cvt_f64_i32_e32 v[34:35], v36
	v_add_f64 v[8:9], v[8:9], v[27:28]
	v_add_f64 v[19:20], v[19:20], -v[34:35]
	v_add_f64 v[8:9], v[10:11], v[8:9]
	v_add_f64 v[10:11], v[21:22], -v[12:13]
	v_add_f64 v[25:26], v[23:24], v[19:20]
	v_add_f64 v[4:5], v[4:5], v[8:9]
	v_add_f64 v[8:9], v[25:26], -v[19:20]
	v_cmp_le_f64_e32 vcc_lo, 0.5, v[25:26]
	v_add_f64 v[4:5], v[10:11], v[4:5]
	v_add_f64 v[8:9], v[23:24], -v[8:9]
	v_cndmask_b32_e64 v34, 0, 0x3ff00000, vcc_lo
	v_add_co_ci_u32_e64 v10, null, 0, v36, vcc_lo
	v_add_f64 v[4:5], v[4:5], v[8:9]
	v_add_f64 v[8:9], v[25:26], -v[33:34]
	v_add_f64 v[11:12], v[8:9], v[4:5]
	v_mul_f64 v[19:20], v[11:12], s[10:11]
	v_add_f64 v[8:9], v[11:12], -v[8:9]
	v_fma_f64 v[21:22], v[11:12], s[10:11], -v[19:20]
	v_add_f64 v[4:5], v[4:5], -v[8:9]
	v_fma_f64 v[8:9], v[11:12], s[12:13], v[21:22]
	v_fma_f64 v[8:9], v[4:5], s[10:11], v[8:9]
	v_add_f64 v[4:5], v[19:20], v[8:9]
	v_add_f64 v[11:12], v[4:5], -v[19:20]
	v_add_f64 v[8:9], v[8:9], -v[11:12]
.LBB1_56:
	s_andn2_saveexec_b32 s1, s1
	s_cbranch_execz .LBB1_58
; %bb.57:
	s_mov_b32 s10, 0x6dc9c883
	s_mov_b32 s11, 0x3fe45f30
	s_mov_b32 s13, 0xbc91a626
	v_mul_f64 v[4:5], |v[16:17]|, s[10:11]
	s_mov_b32 s10, 0x54442d18
	s_mov_b32 s11, 0xbff921fb
	;; [unrolled: 1-line block ×3, first 2 shown]
	v_rndne_f64_e32 v[10:11], v[4:5]
	v_fma_f64 v[4:5], v[10:11], s[10:11], |v[16:17]|
	v_mul_f64 v[8:9], v[10:11], s[12:13]
	s_mov_b32 s10, 0x252049c0
	s_mov_b32 s11, 0xb97b839a
	v_fma_f64 v[19:20], v[10:11], s[12:13], v[4:5]
	v_add_f64 v[12:13], v[4:5], v[8:9]
	s_mov_b32 s13, 0x3c91a626
	v_add_f64 v[4:5], v[4:5], -v[12:13]
	v_add_f64 v[12:13], v[12:13], -v[19:20]
	v_add_f64 v[4:5], v[4:5], v[8:9]
	v_fma_f64 v[8:9], v[10:11], s[12:13], v[8:9]
	v_add_f64 v[4:5], v[12:13], v[4:5]
	v_add_f64 v[4:5], v[4:5], -v[8:9]
	v_fma_f64 v[8:9], v[10:11], s[10:11], v[4:5]
	v_cvt_i32_f64_e32 v10, v[10:11]
	v_add_f64 v[4:5], v[19:20], v[8:9]
	v_add_f64 v[12:13], v[4:5], -v[19:20]
	v_add_f64 v[8:9], v[8:9], -v[12:13]
.LBB1_58:
	s_or_b32 exec_lo, exec_lo, s1
	v_mul_f64 v[11:12], v[4:5], v[4:5]
	s_mov_b32 s10, 0xb42fdfa7
	s_mov_b32 s12, 0xf9a43bb8
	;; [unrolled: 1-line block ×6, first 2 shown]
	v_mul_f64 v[27:28], v[8:9], 0.5
	v_cmp_class_f64_e64 s1, v[16:17], 0x1f8
	v_fma_f64 v[19:20], v[11:12], s[12:13], s[10:11]
	s_mov_b32 s10, 0x9037ab78
	s_mov_b32 s12, 0x46cc5e42
	;; [unrolled: 1-line block ×4, first 2 shown]
	v_mul_f64 v[23:24], v[11:12], 0.5
	v_fma_f64 v[21:22], v[11:12], s[12:13], s[10:11]
	s_mov_b32 s10, 0xa17f65f6
	s_mov_b32 s12, 0x19e83e5c
	s_mov_b32 s11, 0xbe927e4f
	s_mov_b32 s13, 0xbf2a01a0
	v_mul_f64 v[29:30], v[4:5], -v[11:12]
	v_fma_f64 v[19:20], v[11:12], v[19:20], s[14:15]
	v_add_f64 v[25:26], -v[23:24], 1.0
	v_fma_f64 v[21:22], v[11:12], v[21:22], s[10:11]
	s_mov_b32 s10, 0x19f4ec90
	s_mov_b32 s11, 0x3efa01a0
	v_fma_f64 v[19:20], v[11:12], v[19:20], s[12:13]
	s_mov_b32 s12, 0x11110bb3
	s_mov_b32 s13, 0x3f811111
	v_add_f64 v[31:32], -v[25:26], 1.0
	v_fma_f64 v[21:22], v[11:12], v[21:22], s[10:11]
	s_mov_b32 s10, 0x16c16967
	s_mov_b32 s11, 0xbf56c16c
	v_fma_f64 v[19:20], v[11:12], v[19:20], s[12:13]
	v_add_f64 v[23:24], v[31:32], -v[23:24]
	v_fma_f64 v[21:22], v[11:12], v[21:22], s[10:11]
	s_mov_b32 s11, 0x3fa55555
	s_mov_b32 s10, 0x55555555
	v_fma_f64 v[19:20], v[29:30], v[19:20], v[27:28]
	v_mul_f64 v[27:28], v[11:12], v[11:12]
	v_fma_f64 v[23:24], v[4:5], -v[8:9], v[23:24]
	v_fma_f64 v[21:22], v[11:12], v[21:22], s[10:11]
	s_mov_b32 s11, 0xbfc55555
	v_fma_f64 v[8:9], v[11:12], v[19:20], -v[8:9]
	v_fma_f64 v[11:12], v[27:28], v[21:22], v[23:24]
	v_fma_f64 v[8:9], v[29:30], s[10:11], v[8:9]
	v_add_f64 v[11:12], v[25:26], v[11:12]
	v_add_f64 v[4:5], v[4:5], -v[8:9]
	v_and_b32_e32 v8, 1, v10
	v_cmp_eq_u32_e32 vcc_lo, 0, v8
	v_lshlrev_b32_e32 v8, 30, v10
	v_xor_b32_e32 v8, v8, v17
	v_and_b32_e32 v8, 0x80000000, v8
	v_cndmask_b32_e32 v5, v12, v5, vcc_lo
	v_cndmask_b32_e32 v4, v11, v4, vcc_lo
	v_xor_b32_e32 v5, v5, v8
	v_cndmask_b32_e64 v4, 0, v4, s1
	v_cndmask_b32_e64 v5, 0x7ff80000, v5, s1
	v_div_scale_f64 v[8:9], null, v[16:17], v[16:17], v[4:5]
	v_rcp_f64_e32 v[10:11], v[8:9]
	v_fma_f64 v[12:13], -v[8:9], v[10:11], 1.0
	v_fma_f64 v[10:11], v[10:11], v[12:13], v[10:11]
	v_fma_f64 v[12:13], -v[8:9], v[10:11], 1.0
	v_fma_f64 v[10:11], v[10:11], v[12:13], v[10:11]
	v_div_scale_f64 v[12:13], vcc_lo, v[4:5], v[16:17], v[4:5]
	v_mul_f64 v[19:20], v[12:13], v[10:11]
	v_fma_f64 v[8:9], -v[8:9], v[19:20], v[12:13]
	v_div_fmas_f64 v[8:9], v[8:9], v[10:11], v[19:20]
	v_div_fixup_f64 v[4:5], v[8:9], v[16:17], v[4:5]
                                        ; implicit-def: $vgpr16_vgpr17
.LBB1_59:
	s_andn2_saveexec_b32 s1, s5
	s_cbranch_execz .LBB1_61
; %bb.60:
	v_mul_f64 v[4:5], v[16:17], v[16:17]
	s_mov_b32 s10, 0x67f544e4
	s_mov_b32 s12, 0x13a86d09
	;; [unrolled: 1-line block ×4, first 2 shown]
	v_fma_f64 v[8:9], v[4:5], s[12:13], s[10:11]
	s_mov_b32 s10, 0xa556c734
	s_mov_b32 s11, 0x3ec71de3
	v_fma_f64 v[8:9], v[4:5], v[8:9], s[10:11]
	s_mov_b32 s10, 0x1a01a01a
	s_mov_b32 s11, 0xbf2a01a0
	;; [unrolled: 3-line block ×4, first 2 shown]
	v_fma_f64 v[8:9], v[4:5], v[8:9], s[10:11]
	v_fma_f64 v[4:5], v[4:5], v[8:9], 1.0
.LBB1_61:
	s_or_b32 exec_lo, exec_lo, s1
.LBB1_62:
	s_or_b32 exec_lo, exec_lo, s4
	v_mov_b32_e32 v12, 0
	v_mov_b32_e32 v13, v12
	;; [unrolled: 1-line block ×6, first 2 shown]
.LBB1_63:
	s_or_b32 exec_lo, exec_lo, s3
	s_mov_b32 s3, exec_lo
	v_cmpx_gt_i32_e64 s6, v18
	s_cbranch_execz .LBB1_75
; %bb.64:
	v_mov_b32_e32 v12, 0
	v_mov_b32_e32 v13, 0
	s_mov_b32 s4, exec_lo
	s_waitcnt vmcnt(0)
	v_cmpx_neq_f64_e64 0x7ff00000, |v[14:15]|
	s_cbranch_execz .LBB1_74
; %bb.65:
	s_mov_b32 s5, exec_lo
	v_cmpx_nlt_f64_e64 |v[14:15]|, 0.5
	s_xor_b32 s5, exec_lo, s5
                                        ; implicit-def: $vgpr12_vgpr13
	s_cbranch_execz .LBB1_71
; %bb.66:
	v_cmp_ngt_f64_e64 s1, 0x41d00000, |v[14:15]|
                                        ; implicit-def: $vgpr19
                                        ; implicit-def: $vgpr12_vgpr13
                                        ; implicit-def: $vgpr16_vgpr17
	s_and_saveexec_b32 s7, s1
	s_xor_b32 s1, exec_lo, s7
	s_cbranch_execz .LBB1_68
; %bb.67:
	v_ldexp_f64 v[12:13], |v[14:15]|, 0xffffff80
	v_cmp_le_f64_e64 vcc_lo, 0x7b000000, |v[14:15]|
	v_trig_preop_f64 v[16:17], |v[14:15]|, 0
	v_and_b32_e32 v19, 0x7fffffff, v15
	v_trig_preop_f64 v[29:30], |v[14:15]|, 2
	v_mov_b32_e32 v37, 0
	s_mov_b32 s10, 0x54442d18
	s_mov_b32 s11, 0x3ff921fb
	;; [unrolled: 1-line block ×4, first 2 shown]
	v_cndmask_b32_e32 v13, v19, v13, vcc_lo
	v_cndmask_b32_e32 v12, v14, v12, vcc_lo
	v_trig_preop_f64 v[19:20], |v[14:15]|, 1
	v_mul_f64 v[21:22], v[16:17], v[12:13]
	v_mul_f64 v[35:36], v[29:30], v[12:13]
	;; [unrolled: 1-line block ×3, first 2 shown]
	v_fma_f64 v[16:17], v[16:17], v[12:13], -v[21:22]
	v_fma_f64 v[19:20], v[19:20], v[12:13], -v[23:24]
	;; [unrolled: 1-line block ×3, first 2 shown]
	v_add_f64 v[25:26], v[23:24], v[16:17]
	v_add_f64 v[27:28], v[25:26], -v[23:24]
	v_add_f64 v[33:34], v[21:22], v[25:26]
	v_add_f64 v[31:32], v[25:26], -v[27:28]
	v_add_f64 v[16:17], v[16:17], -v[27:28]
	v_ldexp_f64 v[27:28], v[33:34], -2
	v_add_f64 v[21:22], v[33:34], -v[21:22]
	v_add_f64 v[23:24], v[23:24], -v[31:32]
	v_add_f64 v[31:32], v[35:36], v[19:20]
	v_cmp_neq_f64_e64 vcc_lo, 0x7ff00000, |v[27:28]|
	v_add_f64 v[21:22], v[25:26], -v[21:22]
	v_add_f64 v[16:17], v[16:17], v[23:24]
	v_fract_f64_e32 v[23:24], v[27:28]
	v_add_f64 v[25:26], v[31:32], v[16:17]
	v_ldexp_f64 v[23:24], v[23:24], 2
	v_add_f64 v[27:28], v[21:22], v[25:26]
	v_cndmask_b32_e32 v24, 0, v24, vcc_lo
	v_cndmask_b32_e32 v23, 0, v23, vcc_lo
	v_add_f64 v[33:34], v[27:28], v[23:24]
	v_add_f64 v[21:22], v[27:28], -v[21:22]
	v_cmp_gt_f64_e32 vcc_lo, 0, v[33:34]
	v_add_f64 v[33:34], v[31:32], -v[35:36]
	v_cndmask_b32_e64 v38, 0, 0x40100000, vcc_lo
	v_add_f64 v[42:43], v[31:32], -v[33:34]
	v_add_f64 v[19:20], v[19:20], -v[33:34]
	v_add_f64 v[23:24], v[23:24], v[37:38]
	v_add_f64 v[38:39], v[25:26], -v[31:32]
	v_add_f64 v[33:34], v[35:36], -v[42:43]
	v_add_f64 v[40:41], v[27:28], v[23:24]
	;; [unrolled: 3-line block ×3, first 2 shown]
	v_cvt_i32_f64_e32 v40, v[40:41]
	v_add_f64 v[31:32], v[31:32], -v[44:45]
	v_cvt_f64_i32_e32 v[38:39], v40
	v_add_f64 v[16:17], v[16:17], v[31:32]
	v_add_f64 v[23:24], v[23:24], -v[38:39]
	v_add_f64 v[16:17], v[19:20], v[16:17]
	v_add_f64 v[19:20], v[25:26], -v[21:22]
	v_add_f64 v[29:30], v[27:28], v[23:24]
	v_add_f64 v[12:13], v[12:13], v[16:17]
	v_add_f64 v[16:17], v[29:30], -v[23:24]
	v_cmp_le_f64_e32 vcc_lo, 0.5, v[29:30]
	v_add_f64 v[12:13], v[19:20], v[12:13]
	v_add_f64 v[16:17], v[27:28], -v[16:17]
	v_cndmask_b32_e64 v38, 0, 0x3ff00000, vcc_lo
	v_add_co_ci_u32_e64 v19, null, 0, v40, vcc_lo
	v_add_f64 v[12:13], v[12:13], v[16:17]
	v_add_f64 v[16:17], v[29:30], -v[37:38]
	v_add_f64 v[20:21], v[16:17], v[12:13]
	v_mul_f64 v[22:23], v[20:21], s[10:11]
	v_add_f64 v[16:17], v[20:21], -v[16:17]
	v_fma_f64 v[24:25], v[20:21], s[10:11], -v[22:23]
	v_add_f64 v[12:13], v[12:13], -v[16:17]
	v_fma_f64 v[16:17], v[20:21], s[12:13], v[24:25]
	v_fma_f64 v[16:17], v[12:13], s[10:11], v[16:17]
	v_add_f64 v[12:13], v[22:23], v[16:17]
	v_add_f64 v[20:21], v[12:13], -v[22:23]
	v_add_f64 v[16:17], v[16:17], -v[20:21]
.LBB1_68:
	s_andn2_saveexec_b32 s1, s1
	s_cbranch_execz .LBB1_70
; %bb.69:
	s_mov_b32 s10, 0x6dc9c883
	s_mov_b32 s11, 0x3fe45f30
	;; [unrolled: 1-line block ×3, first 2 shown]
	v_mul_f64 v[12:13], |v[14:15]|, s[10:11]
	s_mov_b32 s10, 0x54442d18
	s_mov_b32 s11, 0xbff921fb
	;; [unrolled: 1-line block ×3, first 2 shown]
	v_rndne_f64_e32 v[19:20], v[12:13]
	v_fma_f64 v[12:13], v[19:20], s[10:11], |v[14:15]|
	v_mul_f64 v[16:17], v[19:20], s[12:13]
	s_mov_b32 s10, 0x252049c0
	s_mov_b32 s11, 0xb97b839a
	v_fma_f64 v[23:24], v[19:20], s[12:13], v[12:13]
	v_add_f64 v[21:22], v[12:13], v[16:17]
	s_mov_b32 s13, 0x3c91a626
	v_add_f64 v[12:13], v[12:13], -v[21:22]
	v_add_f64 v[21:22], v[21:22], -v[23:24]
	v_add_f64 v[12:13], v[12:13], v[16:17]
	v_fma_f64 v[16:17], v[19:20], s[12:13], v[16:17]
	v_add_f64 v[12:13], v[21:22], v[12:13]
	v_add_f64 v[12:13], v[12:13], -v[16:17]
	v_fma_f64 v[16:17], v[19:20], s[10:11], v[12:13]
	v_cvt_i32_f64_e32 v19, v[19:20]
	v_add_f64 v[12:13], v[23:24], v[16:17]
	v_add_f64 v[21:22], v[12:13], -v[23:24]
	v_add_f64 v[16:17], v[16:17], -v[21:22]
.LBB1_70:
	s_or_b32 exec_lo, exec_lo, s1
	v_mul_f64 v[20:21], v[12:13], v[12:13]
	s_mov_b32 s10, 0xb42fdfa7
	s_mov_b32 s12, 0xf9a43bb8
	;; [unrolled: 1-line block ×6, first 2 shown]
	v_mul_f64 v[30:31], v[16:17], 0.5
	v_cmp_class_f64_e64 s1, v[14:15], 0x1f8
	v_fma_f64 v[22:23], v[20:21], s[12:13], s[10:11]
	s_mov_b32 s10, 0x9037ab78
	s_mov_b32 s12, 0x46cc5e42
	s_mov_b32 s11, 0x3e21eeb6
	s_mov_b32 s13, 0xbda907db
	v_mul_f64 v[26:27], v[20:21], 0.5
	v_fma_f64 v[24:25], v[20:21], s[12:13], s[10:11]
	s_mov_b32 s10, 0xa17f65f6
	s_mov_b32 s12, 0x19e83e5c
	;; [unrolled: 1-line block ×4, first 2 shown]
	v_mul_f64 v[32:33], v[12:13], -v[20:21]
	v_fma_f64 v[22:23], v[20:21], v[22:23], s[14:15]
	v_add_f64 v[28:29], -v[26:27], 1.0
	v_fma_f64 v[24:25], v[20:21], v[24:25], s[10:11]
	s_mov_b32 s10, 0x19f4ec90
	s_mov_b32 s11, 0x3efa01a0
	v_fma_f64 v[22:23], v[20:21], v[22:23], s[12:13]
	s_mov_b32 s12, 0x11110bb3
	s_mov_b32 s13, 0x3f811111
	v_add_f64 v[34:35], -v[28:29], 1.0
	v_fma_f64 v[24:25], v[20:21], v[24:25], s[10:11]
	s_mov_b32 s10, 0x16c16967
	s_mov_b32 s11, 0xbf56c16c
	v_fma_f64 v[22:23], v[20:21], v[22:23], s[12:13]
	v_add_f64 v[26:27], v[34:35], -v[26:27]
	v_fma_f64 v[24:25], v[20:21], v[24:25], s[10:11]
	s_mov_b32 s11, 0x3fa55555
	s_mov_b32 s10, 0x55555555
	v_fma_f64 v[22:23], v[32:33], v[22:23], v[30:31]
	v_mul_f64 v[30:31], v[20:21], v[20:21]
	v_fma_f64 v[26:27], v[12:13], -v[16:17], v[26:27]
	v_fma_f64 v[24:25], v[20:21], v[24:25], s[10:11]
	s_mov_b32 s11, 0xbfc55555
	v_fma_f64 v[16:17], v[20:21], v[22:23], -v[16:17]
	v_fma_f64 v[20:21], v[30:31], v[24:25], v[26:27]
	v_fma_f64 v[16:17], v[32:33], s[10:11], v[16:17]
	v_add_f64 v[20:21], v[28:29], v[20:21]
	v_add_f64 v[12:13], v[12:13], -v[16:17]
	v_and_b32_e32 v16, 1, v19
	v_cmp_eq_u32_e32 vcc_lo, 0, v16
	v_lshlrev_b32_e32 v16, 30, v19
	v_xor_b32_e32 v16, v16, v15
	v_and_b32_e32 v16, 0x80000000, v16
	v_cndmask_b32_e32 v13, v21, v13, vcc_lo
	v_cndmask_b32_e32 v12, v20, v12, vcc_lo
	v_xor_b32_e32 v13, v13, v16
	v_cndmask_b32_e64 v12, 0, v12, s1
	v_cndmask_b32_e64 v13, 0x7ff80000, v13, s1
	v_div_scale_f64 v[16:17], null, v[14:15], v[14:15], v[12:13]
	v_rcp_f64_e32 v[19:20], v[16:17]
	v_fma_f64 v[21:22], -v[16:17], v[19:20], 1.0
	v_fma_f64 v[19:20], v[19:20], v[21:22], v[19:20]
	v_fma_f64 v[21:22], -v[16:17], v[19:20], 1.0
	v_fma_f64 v[19:20], v[19:20], v[21:22], v[19:20]
	v_div_scale_f64 v[21:22], vcc_lo, v[12:13], v[14:15], v[12:13]
	v_mul_f64 v[23:24], v[21:22], v[19:20]
	v_fma_f64 v[16:17], -v[16:17], v[23:24], v[21:22]
	v_div_fmas_f64 v[16:17], v[16:17], v[19:20], v[23:24]
	v_div_fixup_f64 v[12:13], v[16:17], v[14:15], v[12:13]
                                        ; implicit-def: $vgpr14_vgpr15
.LBB1_71:
	s_andn2_saveexec_b32 s1, s5
	s_cbranch_execz .LBB1_73
; %bb.72:
	v_mul_f64 v[12:13], v[14:15], v[14:15]
	s_mov_b32 s10, 0x67f544e4
	s_mov_b32 s12, 0x13a86d09
	;; [unrolled: 1-line block ×4, first 2 shown]
	v_fma_f64 v[14:15], v[12:13], s[12:13], s[10:11]
	s_mov_b32 s10, 0xa556c734
	s_mov_b32 s11, 0x3ec71de3
	v_fma_f64 v[14:15], v[12:13], v[14:15], s[10:11]
	s_mov_b32 s10, 0x1a01a01a
	s_mov_b32 s11, 0xbf2a01a0
	;; [unrolled: 3-line block ×4, first 2 shown]
	v_fma_f64 v[14:15], v[12:13], v[14:15], s[10:11]
	v_fma_f64 v[12:13], v[12:13], v[14:15], 1.0
.LBB1_73:
	s_or_b32 exec_lo, exec_lo, s1
.LBB1_74:
	s_or_b32 exec_lo, exec_lo, s4
.LBB1_75:
	s_or_b32 exec_lo, exec_lo, s3
	s_waitcnt vmcnt(0)
	v_or_b32_e32 v14, 0x200, v0
	s_mov_b32 s3, exec_lo
	v_cmpx_gt_i32_e64 s6, v14
	s_cbranch_execz .LBB1_87
; %bb.76:
	v_mov_b32_e32 v10, 0
	v_mov_b32_e32 v11, 0
	s_mov_b32 s4, exec_lo
	v_cmpx_neq_f64_e64 0x7ff00000, |v[6:7]|
	s_cbranch_execz .LBB1_86
; %bb.77:
	s_mov_b32 s5, exec_lo
	v_cmpx_nlt_f64_e64 |v[6:7]|, 0.5
	s_xor_b32 s5, exec_lo, s5
                                        ; implicit-def: $vgpr10_vgpr11
	s_cbranch_execz .LBB1_83
; %bb.78:
	v_cmp_ngt_f64_e64 s1, 0x41d00000, |v[6:7]|
                                        ; implicit-def: $vgpr16
                                        ; implicit-def: $vgpr10_vgpr11
                                        ; implicit-def: $vgpr14_vgpr15
	s_and_saveexec_b32 s7, s1
	s_xor_b32 s1, exec_lo, s7
	s_cbranch_execz .LBB1_80
; %bb.79:
	v_ldexp_f64 v[10:11], |v[6:7]|, 0xffffff80
	v_cmp_le_f64_e64 vcc_lo, 0x7b000000, |v[6:7]|
	v_trig_preop_f64 v[14:15], |v[6:7]|, 0
	v_and_b32_e32 v16, 0x7fffffff, v7
	v_trig_preop_f64 v[27:28], |v[6:7]|, 2
	v_mov_b32_e32 v35, 0
	s_mov_b32 s10, 0x54442d18
	s_mov_b32 s11, 0x3ff921fb
	;; [unrolled: 1-line block ×4, first 2 shown]
	v_cndmask_b32_e32 v11, v16, v11, vcc_lo
	v_cndmask_b32_e32 v10, v6, v10, vcc_lo
	v_trig_preop_f64 v[16:17], |v[6:7]|, 1
	v_mul_f64 v[19:20], v[14:15], v[10:11]
	v_mul_f64 v[33:34], v[27:28], v[10:11]
	;; [unrolled: 1-line block ×3, first 2 shown]
	v_fma_f64 v[14:15], v[14:15], v[10:11], -v[19:20]
	v_fma_f64 v[16:17], v[16:17], v[10:11], -v[21:22]
	v_fma_f64 v[10:11], v[27:28], v[10:11], -v[33:34]
	v_add_f64 v[23:24], v[21:22], v[14:15]
	v_add_f64 v[25:26], v[23:24], -v[21:22]
	v_add_f64 v[31:32], v[19:20], v[23:24]
	v_add_f64 v[29:30], v[23:24], -v[25:26]
	v_add_f64 v[14:15], v[14:15], -v[25:26]
	v_ldexp_f64 v[25:26], v[31:32], -2
	v_add_f64 v[19:20], v[31:32], -v[19:20]
	v_add_f64 v[21:22], v[21:22], -v[29:30]
	v_add_f64 v[29:30], v[33:34], v[16:17]
	v_cmp_neq_f64_e64 vcc_lo, 0x7ff00000, |v[25:26]|
	v_add_f64 v[19:20], v[23:24], -v[19:20]
	v_add_f64 v[14:15], v[14:15], v[21:22]
	v_fract_f64_e32 v[21:22], v[25:26]
	v_add_f64 v[23:24], v[29:30], v[14:15]
	v_ldexp_f64 v[21:22], v[21:22], 2
	v_add_f64 v[25:26], v[19:20], v[23:24]
	v_cndmask_b32_e32 v22, 0, v22, vcc_lo
	v_cndmask_b32_e32 v21, 0, v21, vcc_lo
	v_add_f64 v[31:32], v[25:26], v[21:22]
	v_add_f64 v[19:20], v[25:26], -v[19:20]
	v_cmp_gt_f64_e32 vcc_lo, 0, v[31:32]
	v_add_f64 v[31:32], v[29:30], -v[33:34]
	v_cndmask_b32_e64 v36, 0, 0x40100000, vcc_lo
	v_add_f64 v[40:41], v[29:30], -v[31:32]
	v_add_f64 v[16:17], v[16:17], -v[31:32]
	v_add_f64 v[21:22], v[21:22], v[35:36]
	v_add_f64 v[36:37], v[23:24], -v[29:30]
	v_add_f64 v[31:32], v[33:34], -v[40:41]
	v_add_f64 v[38:39], v[25:26], v[21:22]
	;; [unrolled: 3-line block ×3, first 2 shown]
	v_cvt_i32_f64_e32 v38, v[38:39]
	v_add_f64 v[29:30], v[29:30], -v[42:43]
	v_cvt_f64_i32_e32 v[36:37], v38
	v_add_f64 v[14:15], v[14:15], v[29:30]
	v_add_f64 v[21:22], v[21:22], -v[36:37]
	v_add_f64 v[14:15], v[16:17], v[14:15]
	v_add_f64 v[16:17], v[23:24], -v[19:20]
	v_add_f64 v[27:28], v[25:26], v[21:22]
	v_add_f64 v[10:11], v[10:11], v[14:15]
	v_add_f64 v[14:15], v[27:28], -v[21:22]
	v_cmp_le_f64_e32 vcc_lo, 0.5, v[27:28]
	v_add_f64 v[10:11], v[16:17], v[10:11]
	v_add_f64 v[14:15], v[25:26], -v[14:15]
	v_cndmask_b32_e64 v36, 0, 0x3ff00000, vcc_lo
	v_add_co_ci_u32_e64 v16, null, 0, v38, vcc_lo
	v_add_f64 v[10:11], v[10:11], v[14:15]
	v_add_f64 v[14:15], v[27:28], -v[35:36]
	v_add_f64 v[19:20], v[14:15], v[10:11]
	v_mul_f64 v[21:22], v[19:20], s[10:11]
	v_add_f64 v[14:15], v[19:20], -v[14:15]
	v_fma_f64 v[23:24], v[19:20], s[10:11], -v[21:22]
	v_add_f64 v[10:11], v[10:11], -v[14:15]
	v_fma_f64 v[14:15], v[19:20], s[12:13], v[23:24]
	v_fma_f64 v[14:15], v[10:11], s[10:11], v[14:15]
	v_add_f64 v[10:11], v[21:22], v[14:15]
	v_add_f64 v[19:20], v[10:11], -v[21:22]
	v_add_f64 v[14:15], v[14:15], -v[19:20]
.LBB1_80:
	s_andn2_saveexec_b32 s1, s1
	s_cbranch_execz .LBB1_82
; %bb.81:
	s_mov_b32 s10, 0x6dc9c883
	s_mov_b32 s11, 0x3fe45f30
	;; [unrolled: 1-line block ×3, first 2 shown]
	v_mul_f64 v[10:11], |v[6:7]|, s[10:11]
	s_mov_b32 s10, 0x54442d18
	s_mov_b32 s11, 0xbff921fb
	;; [unrolled: 1-line block ×3, first 2 shown]
	v_rndne_f64_e32 v[16:17], v[10:11]
	v_fma_f64 v[10:11], v[16:17], s[10:11], |v[6:7]|
	v_mul_f64 v[14:15], v[16:17], s[12:13]
	s_mov_b32 s10, 0x252049c0
	s_mov_b32 s11, 0xb97b839a
	v_fma_f64 v[21:22], v[16:17], s[12:13], v[10:11]
	v_add_f64 v[19:20], v[10:11], v[14:15]
	s_mov_b32 s13, 0x3c91a626
	v_add_f64 v[10:11], v[10:11], -v[19:20]
	v_add_f64 v[19:20], v[19:20], -v[21:22]
	v_add_f64 v[10:11], v[10:11], v[14:15]
	v_fma_f64 v[14:15], v[16:17], s[12:13], v[14:15]
	v_add_f64 v[10:11], v[19:20], v[10:11]
	v_add_f64 v[10:11], v[10:11], -v[14:15]
	v_fma_f64 v[14:15], v[16:17], s[10:11], v[10:11]
	v_cvt_i32_f64_e32 v16, v[16:17]
	v_add_f64 v[10:11], v[21:22], v[14:15]
	v_add_f64 v[19:20], v[10:11], -v[21:22]
	v_add_f64 v[14:15], v[14:15], -v[19:20]
.LBB1_82:
	s_or_b32 exec_lo, exec_lo, s1
	v_mul_f64 v[19:20], v[10:11], v[10:11]
	s_mov_b32 s10, 0xb42fdfa7
	s_mov_b32 s12, 0xf9a43bb8
	;; [unrolled: 1-line block ×6, first 2 shown]
	v_mul_f64 v[29:30], v[14:15], 0.5
	v_cmp_class_f64_e64 s1, v[6:7], 0x1f8
	v_fma_f64 v[21:22], v[19:20], s[12:13], s[10:11]
	s_mov_b32 s10, 0x9037ab78
	s_mov_b32 s12, 0x46cc5e42
	;; [unrolled: 1-line block ×4, first 2 shown]
	v_mul_f64 v[25:26], v[19:20], 0.5
	v_fma_f64 v[23:24], v[19:20], s[12:13], s[10:11]
	s_mov_b32 s10, 0xa17f65f6
	s_mov_b32 s12, 0x19e83e5c
	;; [unrolled: 1-line block ×4, first 2 shown]
	v_mul_f64 v[31:32], v[10:11], -v[19:20]
	v_fma_f64 v[21:22], v[19:20], v[21:22], s[14:15]
	v_add_f64 v[27:28], -v[25:26], 1.0
	v_fma_f64 v[23:24], v[19:20], v[23:24], s[10:11]
	s_mov_b32 s10, 0x19f4ec90
	s_mov_b32 s11, 0x3efa01a0
	v_fma_f64 v[21:22], v[19:20], v[21:22], s[12:13]
	s_mov_b32 s12, 0x11110bb3
	s_mov_b32 s13, 0x3f811111
	v_add_f64 v[33:34], -v[27:28], 1.0
	v_fma_f64 v[23:24], v[19:20], v[23:24], s[10:11]
	s_mov_b32 s10, 0x16c16967
	s_mov_b32 s11, 0xbf56c16c
	v_fma_f64 v[21:22], v[19:20], v[21:22], s[12:13]
	v_add_f64 v[25:26], v[33:34], -v[25:26]
	v_fma_f64 v[23:24], v[19:20], v[23:24], s[10:11]
	s_mov_b32 s11, 0x3fa55555
	s_mov_b32 s10, 0x55555555
	v_fma_f64 v[21:22], v[31:32], v[21:22], v[29:30]
	v_mul_f64 v[29:30], v[19:20], v[19:20]
	v_fma_f64 v[25:26], v[10:11], -v[14:15], v[25:26]
	v_fma_f64 v[23:24], v[19:20], v[23:24], s[10:11]
	s_mov_b32 s11, 0xbfc55555
	v_fma_f64 v[14:15], v[19:20], v[21:22], -v[14:15]
	v_fma_f64 v[19:20], v[29:30], v[23:24], v[25:26]
	v_fma_f64 v[14:15], v[31:32], s[10:11], v[14:15]
	v_add_f64 v[19:20], v[27:28], v[19:20]
	v_add_f64 v[10:11], v[10:11], -v[14:15]
	v_and_b32_e32 v14, 1, v16
	v_cmp_eq_u32_e32 vcc_lo, 0, v14
	v_lshlrev_b32_e32 v14, 30, v16
	v_xor_b32_e32 v14, v14, v7
	v_and_b32_e32 v14, 0x80000000, v14
	v_cndmask_b32_e32 v11, v20, v11, vcc_lo
	v_cndmask_b32_e32 v10, v19, v10, vcc_lo
	v_xor_b32_e32 v11, v11, v14
	v_cndmask_b32_e64 v10, 0, v10, s1
	v_cndmask_b32_e64 v11, 0x7ff80000, v11, s1
	v_div_scale_f64 v[14:15], null, v[6:7], v[6:7], v[10:11]
	v_rcp_f64_e32 v[16:17], v[14:15]
	v_fma_f64 v[19:20], -v[14:15], v[16:17], 1.0
	v_fma_f64 v[16:17], v[16:17], v[19:20], v[16:17]
	v_fma_f64 v[19:20], -v[14:15], v[16:17], 1.0
	v_fma_f64 v[16:17], v[16:17], v[19:20], v[16:17]
	v_div_scale_f64 v[19:20], vcc_lo, v[10:11], v[6:7], v[10:11]
	v_mul_f64 v[21:22], v[19:20], v[16:17]
	v_fma_f64 v[14:15], -v[14:15], v[21:22], v[19:20]
	v_div_fmas_f64 v[14:15], v[14:15], v[16:17], v[21:22]
	v_div_fixup_f64 v[10:11], v[14:15], v[6:7], v[10:11]
                                        ; implicit-def: $vgpr6_vgpr7
.LBB1_83:
	s_andn2_saveexec_b32 s1, s5
	s_cbranch_execz .LBB1_85
; %bb.84:
	v_mul_f64 v[6:7], v[6:7], v[6:7]
	s_mov_b32 s10, 0x67f544e4
	s_mov_b32 s12, 0x13a86d09
	;; [unrolled: 1-line block ×4, first 2 shown]
	v_fma_f64 v[10:11], v[6:7], s[12:13], s[10:11]
	s_mov_b32 s10, 0xa556c734
	s_mov_b32 s11, 0x3ec71de3
	v_fma_f64 v[10:11], v[6:7], v[10:11], s[10:11]
	s_mov_b32 s10, 0x1a01a01a
	s_mov_b32 s11, 0xbf2a01a0
	;; [unrolled: 3-line block ×4, first 2 shown]
	v_fma_f64 v[10:11], v[6:7], v[10:11], s[10:11]
	v_fma_f64 v[10:11], v[6:7], v[10:11], 1.0
.LBB1_85:
	s_or_b32 exec_lo, exec_lo, s1
.LBB1_86:
	s_or_b32 exec_lo, exec_lo, s4
.LBB1_87:
	s_or_b32 exec_lo, exec_lo, s3
	v_or_b32_e32 v6, 0x300, v0
	s_mov_b32 s3, exec_lo
	v_cmpx_gt_i32_e64 s6, v6
	s_cbranch_execnz .LBB1_94
; %bb.88:
	s_or_b32 exec_lo, exec_lo, s3
	s_and_saveexec_b32 s1, s0
	s_xor_b32 s0, exec_lo, s1
	s_cbranch_execnz .LBB1_105
.LBB1_89:
	s_or_b32 exec_lo, exec_lo, s0
	s_mov_b32 s0, exec_lo
	v_cmpx_gt_i32_e64 s6, v0
	s_cbranch_execnz .LBB1_106
.LBB1_90:
	s_or_b32 exec_lo, exec_lo, s0
	s_mov_b32 s0, exec_lo
	v_cmpx_gt_i32_e64 s6, v0
	s_cbranch_execnz .LBB1_107
.LBB1_91:
	s_or_b32 exec_lo, exec_lo, s0
	s_mov_b32 s0, exec_lo
	v_cmpx_gt_i32_e64 s6, v0
	s_cbranch_execz .LBB1_93
.LBB1_92:
	v_add_nc_u32_e32 v0, s2, v0
	v_mov_b32_e32 v1, 0
	v_lshlrev_b64 v[0:1], 3, v[0:1]
	v_add_co_u32 v0, vcc_lo, s8, v0
	v_add_co_ci_u32_e64 v1, null, s9, v1, vcc_lo
	global_store_dwordx2 v[0:1], v[8:9], off
.LBB1_93:
	s_endpgm
.LBB1_94:
	v_mov_b32_e32 v8, 0
	v_mov_b32_e32 v9, 0
	s_mov_b32 s4, exec_lo
	v_cmpx_neq_f64_e64 0x7ff00000, |v[2:3]|
	s_cbranch_execz .LBB1_104
; %bb.95:
	s_mov_b32 s5, exec_lo
	v_cmpx_nlt_f64_e64 |v[2:3]|, 0.5
	s_xor_b32 s5, exec_lo, s5
                                        ; implicit-def: $vgpr8_vgpr9
	s_cbranch_execz .LBB1_101
; %bb.96:
	v_cmp_ngt_f64_e64 s1, 0x41d00000, |v[2:3]|
                                        ; implicit-def: $vgpr14
                                        ; implicit-def: $vgpr6_vgpr7
                                        ; implicit-def: $vgpr8_vgpr9
	s_and_saveexec_b32 s7, s1
	s_xor_b32 s1, exec_lo, s7
	s_cbranch_execz .LBB1_98
; %bb.97:
	v_ldexp_f64 v[6:7], |v[2:3]|, 0xffffff80
	v_cmp_le_f64_e64 vcc_lo, 0x7b000000, |v[2:3]|
	v_trig_preop_f64 v[8:9], |v[2:3]|, 0
	v_and_b32_e32 v14, 0x7fffffff, v3
	v_trig_preop_f64 v[25:26], |v[2:3]|, 2
	v_mov_b32_e32 v33, 0
	s_mov_b32 s10, 0x54442d18
	s_mov_b32 s11, 0x3ff921fb
	;; [unrolled: 1-line block ×4, first 2 shown]
	v_cndmask_b32_e32 v7, v14, v7, vcc_lo
	v_cndmask_b32_e32 v6, v2, v6, vcc_lo
	v_trig_preop_f64 v[14:15], |v[2:3]|, 1
	v_mul_f64 v[16:17], v[8:9], v[6:7]
	v_mul_f64 v[31:32], v[25:26], v[6:7]
	;; [unrolled: 1-line block ×3, first 2 shown]
	v_fma_f64 v[8:9], v[8:9], v[6:7], -v[16:17]
	v_fma_f64 v[14:15], v[14:15], v[6:7], -v[19:20]
	;; [unrolled: 1-line block ×3, first 2 shown]
	v_add_f64 v[21:22], v[19:20], v[8:9]
	v_add_f64 v[23:24], v[21:22], -v[19:20]
	v_add_f64 v[29:30], v[16:17], v[21:22]
	v_add_f64 v[27:28], v[21:22], -v[23:24]
	v_add_f64 v[8:9], v[8:9], -v[23:24]
	v_ldexp_f64 v[23:24], v[29:30], -2
	v_add_f64 v[16:17], v[29:30], -v[16:17]
	v_add_f64 v[19:20], v[19:20], -v[27:28]
	v_add_f64 v[27:28], v[31:32], v[14:15]
	v_cmp_neq_f64_e64 vcc_lo, 0x7ff00000, |v[23:24]|
	v_add_f64 v[16:17], v[21:22], -v[16:17]
	v_add_f64 v[8:9], v[8:9], v[19:20]
	v_fract_f64_e32 v[19:20], v[23:24]
	v_add_f64 v[21:22], v[27:28], v[8:9]
	v_ldexp_f64 v[19:20], v[19:20], 2
	v_add_f64 v[23:24], v[16:17], v[21:22]
	v_cndmask_b32_e32 v20, 0, v20, vcc_lo
	v_cndmask_b32_e32 v19, 0, v19, vcc_lo
	v_add_f64 v[29:30], v[23:24], v[19:20]
	v_add_f64 v[16:17], v[23:24], -v[16:17]
	v_cmp_gt_f64_e32 vcc_lo, 0, v[29:30]
	v_add_f64 v[29:30], v[27:28], -v[31:32]
	v_cndmask_b32_e64 v34, 0, 0x40100000, vcc_lo
	v_add_f64 v[38:39], v[27:28], -v[29:30]
	v_add_f64 v[14:15], v[14:15], -v[29:30]
	v_add_f64 v[19:20], v[19:20], v[33:34]
	v_add_f64 v[34:35], v[21:22], -v[27:28]
	v_add_f64 v[29:30], v[31:32], -v[38:39]
	v_add_f64 v[36:37], v[23:24], v[19:20]
	;; [unrolled: 3-line block ×3, first 2 shown]
	v_cvt_i32_f64_e32 v36, v[36:37]
	v_add_f64 v[27:28], v[27:28], -v[40:41]
	v_cvt_f64_i32_e32 v[34:35], v36
	v_add_f64 v[8:9], v[8:9], v[27:28]
	v_add_f64 v[19:20], v[19:20], -v[34:35]
	v_add_f64 v[8:9], v[14:15], v[8:9]
	v_add_f64 v[14:15], v[21:22], -v[16:17]
	v_add_f64 v[25:26], v[23:24], v[19:20]
	v_add_f64 v[6:7], v[6:7], v[8:9]
	v_add_f64 v[8:9], v[25:26], -v[19:20]
	v_cmp_le_f64_e32 vcc_lo, 0.5, v[25:26]
	v_add_f64 v[6:7], v[14:15], v[6:7]
	v_add_f64 v[8:9], v[23:24], -v[8:9]
	v_cndmask_b32_e64 v34, 0, 0x3ff00000, vcc_lo
	v_add_co_ci_u32_e64 v14, null, 0, v36, vcc_lo
	v_add_f64 v[6:7], v[6:7], v[8:9]
	v_add_f64 v[8:9], v[25:26], -v[33:34]
	v_add_f64 v[15:16], v[8:9], v[6:7]
	v_mul_f64 v[19:20], v[15:16], s[10:11]
	v_add_f64 v[8:9], v[15:16], -v[8:9]
	v_fma_f64 v[21:22], v[15:16], s[10:11], -v[19:20]
	v_add_f64 v[6:7], v[6:7], -v[8:9]
	v_fma_f64 v[8:9], v[15:16], s[12:13], v[21:22]
	v_fma_f64 v[8:9], v[6:7], s[10:11], v[8:9]
	v_add_f64 v[6:7], v[19:20], v[8:9]
	v_add_f64 v[15:16], v[6:7], -v[19:20]
	v_add_f64 v[8:9], v[8:9], -v[15:16]
.LBB1_98:
	s_andn2_saveexec_b32 s1, s1
	s_cbranch_execz .LBB1_100
; %bb.99:
	s_mov_b32 s10, 0x6dc9c883
	s_mov_b32 s11, 0x3fe45f30
	;; [unrolled: 1-line block ×3, first 2 shown]
	v_mul_f64 v[6:7], |v[2:3]|, s[10:11]
	s_mov_b32 s10, 0x54442d18
	s_mov_b32 s11, 0xbff921fb
	;; [unrolled: 1-line block ×3, first 2 shown]
	v_rndne_f64_e32 v[14:15], v[6:7]
	v_fma_f64 v[6:7], v[14:15], s[10:11], |v[2:3]|
	v_mul_f64 v[8:9], v[14:15], s[12:13]
	s_mov_b32 s10, 0x252049c0
	s_mov_b32 s11, 0xb97b839a
	v_fma_f64 v[19:20], v[14:15], s[12:13], v[6:7]
	v_add_f64 v[16:17], v[6:7], v[8:9]
	s_mov_b32 s13, 0x3c91a626
	v_add_f64 v[6:7], v[6:7], -v[16:17]
	v_add_f64 v[16:17], v[16:17], -v[19:20]
	v_add_f64 v[6:7], v[6:7], v[8:9]
	v_fma_f64 v[8:9], v[14:15], s[12:13], v[8:9]
	v_add_f64 v[6:7], v[16:17], v[6:7]
	v_add_f64 v[6:7], v[6:7], -v[8:9]
	v_fma_f64 v[8:9], v[14:15], s[10:11], v[6:7]
	v_cvt_i32_f64_e32 v14, v[14:15]
	v_add_f64 v[6:7], v[19:20], v[8:9]
	v_add_f64 v[16:17], v[6:7], -v[19:20]
	v_add_f64 v[8:9], v[8:9], -v[16:17]
.LBB1_100:
	s_or_b32 exec_lo, exec_lo, s1
	v_mul_f64 v[15:16], v[6:7], v[6:7]
	s_mov_b32 s10, 0xb42fdfa7
	s_mov_b32 s12, 0xf9a43bb8
	;; [unrolled: 1-line block ×6, first 2 shown]
	v_mul_f64 v[27:28], v[8:9], 0.5
	v_cmp_class_f64_e64 s1, v[2:3], 0x1f8
	v_fma_f64 v[19:20], v[15:16], s[12:13], s[10:11]
	s_mov_b32 s10, 0x9037ab78
	s_mov_b32 s12, 0x46cc5e42
	;; [unrolled: 1-line block ×4, first 2 shown]
	v_mul_f64 v[23:24], v[15:16], 0.5
	v_fma_f64 v[21:22], v[15:16], s[12:13], s[10:11]
	s_mov_b32 s10, 0xa17f65f6
	s_mov_b32 s12, 0x19e83e5c
	;; [unrolled: 1-line block ×4, first 2 shown]
	v_mul_f64 v[29:30], v[6:7], -v[15:16]
	v_fma_f64 v[19:20], v[15:16], v[19:20], s[14:15]
	v_add_f64 v[25:26], -v[23:24], 1.0
	v_fma_f64 v[21:22], v[15:16], v[21:22], s[10:11]
	s_mov_b32 s10, 0x19f4ec90
	s_mov_b32 s11, 0x3efa01a0
	v_fma_f64 v[19:20], v[15:16], v[19:20], s[12:13]
	s_mov_b32 s12, 0x11110bb3
	s_mov_b32 s13, 0x3f811111
	v_add_f64 v[31:32], -v[25:26], 1.0
	v_fma_f64 v[21:22], v[15:16], v[21:22], s[10:11]
	s_mov_b32 s10, 0x16c16967
	s_mov_b32 s11, 0xbf56c16c
	v_fma_f64 v[19:20], v[15:16], v[19:20], s[12:13]
	v_add_f64 v[23:24], v[31:32], -v[23:24]
	v_fma_f64 v[21:22], v[15:16], v[21:22], s[10:11]
	s_mov_b32 s11, 0x3fa55555
	s_mov_b32 s10, 0x55555555
	v_fma_f64 v[19:20], v[29:30], v[19:20], v[27:28]
	v_mul_f64 v[27:28], v[15:16], v[15:16]
	v_fma_f64 v[23:24], v[6:7], -v[8:9], v[23:24]
	v_fma_f64 v[21:22], v[15:16], v[21:22], s[10:11]
	s_mov_b32 s11, 0xbfc55555
	v_fma_f64 v[8:9], v[15:16], v[19:20], -v[8:9]
	v_fma_f64 v[15:16], v[27:28], v[21:22], v[23:24]
	v_fma_f64 v[8:9], v[29:30], s[10:11], v[8:9]
	v_add_f64 v[15:16], v[25:26], v[15:16]
	v_add_f64 v[6:7], v[6:7], -v[8:9]
	v_and_b32_e32 v8, 1, v14
	v_cmp_eq_u32_e32 vcc_lo, 0, v8
	v_lshlrev_b32_e32 v8, 30, v14
	v_xor_b32_e32 v8, v8, v3
	v_and_b32_e32 v8, 0x80000000, v8
	v_cndmask_b32_e32 v7, v16, v7, vcc_lo
	v_cndmask_b32_e32 v6, v15, v6, vcc_lo
	v_xor_b32_e32 v7, v7, v8
	v_cndmask_b32_e64 v6, 0, v6, s1
	v_cndmask_b32_e64 v7, 0x7ff80000, v7, s1
	v_div_scale_f64 v[8:9], null, v[2:3], v[2:3], v[6:7]
	v_rcp_f64_e32 v[14:15], v[8:9]
	v_fma_f64 v[16:17], -v[8:9], v[14:15], 1.0
	v_fma_f64 v[14:15], v[14:15], v[16:17], v[14:15]
	v_fma_f64 v[16:17], -v[8:9], v[14:15], 1.0
	v_fma_f64 v[14:15], v[14:15], v[16:17], v[14:15]
	v_div_scale_f64 v[16:17], vcc_lo, v[6:7], v[2:3], v[6:7]
	v_mul_f64 v[19:20], v[16:17], v[14:15]
	v_fma_f64 v[8:9], -v[8:9], v[19:20], v[16:17]
	v_div_fmas_f64 v[8:9], v[8:9], v[14:15], v[19:20]
	v_div_fixup_f64 v[8:9], v[8:9], v[2:3], v[6:7]
                                        ; implicit-def: $vgpr2_vgpr3
.LBB1_101:
	s_andn2_saveexec_b32 s1, s5
	s_cbranch_execz .LBB1_103
; %bb.102:
	v_mul_f64 v[2:3], v[2:3], v[2:3]
	s_mov_b32 s10, 0x67f544e4
	s_mov_b32 s12, 0x13a86d09
	;; [unrolled: 1-line block ×4, first 2 shown]
	v_fma_f64 v[6:7], v[2:3], s[12:13], s[10:11]
	s_mov_b32 s10, 0xa556c734
	s_mov_b32 s11, 0x3ec71de3
	v_fma_f64 v[6:7], v[2:3], v[6:7], s[10:11]
	s_mov_b32 s10, 0x1a01a01a
	s_mov_b32 s11, 0xbf2a01a0
	;; [unrolled: 3-line block ×4, first 2 shown]
	v_fma_f64 v[6:7], v[2:3], v[6:7], s[10:11]
	v_fma_f64 v[8:9], v[2:3], v[6:7], 1.0
.LBB1_103:
	s_or_b32 exec_lo, exec_lo, s1
.LBB1_104:
	s_or_b32 exec_lo, exec_lo, s4
	s_or_b32 exec_lo, exec_lo, s3
	s_and_saveexec_b32 s1, s0
	s_xor_b32 s0, exec_lo, s1
	s_cbranch_execz .LBB1_89
.LBB1_105:
	v_mov_b32_e32 v2, 0
	v_lshlrev_b64 v[0:1], 3, v[1:2]
	v_add_co_u32 v2, vcc_lo, s8, v0
	v_add_co_ci_u32_e64 v3, null, s9, v1, vcc_lo
	v_mov_b32_e32 v0, v18
	global_store_dwordx2 v[2:3], v[4:5], off
	s_or_b32 exec_lo, exec_lo, s0
	s_mov_b32 s0, exec_lo
	v_cmpx_gt_i32_e64 s6, v0
	s_cbranch_execz .LBB1_90
.LBB1_106:
	v_add_nc_u32_e32 v1, s2, v0
	v_mov_b32_e32 v2, 0
	v_add_nc_u32_e32 v0, 0x100, v0
	v_lshlrev_b64 v[1:2], 3, v[1:2]
	v_add_co_u32 v1, vcc_lo, s8, v1
	v_add_co_ci_u32_e64 v2, null, s9, v2, vcc_lo
	global_store_dwordx2 v[1:2], v[12:13], off
	s_or_b32 exec_lo, exec_lo, s0
	s_mov_b32 s0, exec_lo
	v_cmpx_gt_i32_e64 s6, v0
	s_cbranch_execz .LBB1_91
.LBB1_107:
	v_add_nc_u32_e32 v1, s2, v0
	v_mov_b32_e32 v2, 0
	v_add_nc_u32_e32 v0, 0x100, v0
	v_lshlrev_b64 v[1:2], 3, v[1:2]
	v_add_co_u32 v1, vcc_lo, s8, v1
	v_add_co_ci_u32_e64 v2, null, s9, v2, vcc_lo
	global_store_dwordx2 v[1:2], v[10:11], off
	s_or_b32 exec_lo, exec_lo, s0
	s_mov_b32 s0, exec_lo
	v_cmpx_gt_i32_e64 s6, v0
	s_cbranch_execnz .LBB1_92
	s_branch .LBB1_93
	.section	.rodata,"a",@progbits
	.p2align	6, 0x0
	.amdhsa_kernel _ZN2at6native29vectorized_elementwise_kernelILi8EZZZNS0_12_GLOBAL__N_131spherical_bessel_j0_kernel_cudaERNS_18TensorIteratorBaseEENKUlvE_clEvENKUlvE_clEvEUldE_St5arrayIPcLm2EEEEviT0_T1_
		.amdhsa_group_segment_fixed_size 0
		.amdhsa_private_segment_fixed_size 0
		.amdhsa_kernarg_size 24
		.amdhsa_user_sgpr_count 6
		.amdhsa_user_sgpr_private_segment_buffer 1
		.amdhsa_user_sgpr_dispatch_ptr 0
		.amdhsa_user_sgpr_queue_ptr 0
		.amdhsa_user_sgpr_kernarg_segment_ptr 1
		.amdhsa_user_sgpr_dispatch_id 0
		.amdhsa_user_sgpr_flat_scratch_init 0
		.amdhsa_user_sgpr_private_segment_size 0
		.amdhsa_wavefront_size32 1
		.amdhsa_uses_dynamic_stack 0
		.amdhsa_system_sgpr_private_segment_wavefront_offset 0
		.amdhsa_system_sgpr_workgroup_id_x 1
		.amdhsa_system_sgpr_workgroup_id_y 0
		.amdhsa_system_sgpr_workgroup_id_z 0
		.amdhsa_system_sgpr_workgroup_info 0
		.amdhsa_system_vgpr_workitem_id 0
		.amdhsa_next_free_vgpr 46
		.amdhsa_next_free_sgpr 18
		.amdhsa_reserve_vcc 1
		.amdhsa_reserve_flat_scratch 0
		.amdhsa_float_round_mode_32 0
		.amdhsa_float_round_mode_16_64 0
		.amdhsa_float_denorm_mode_32 3
		.amdhsa_float_denorm_mode_16_64 3
		.amdhsa_dx10_clamp 1
		.amdhsa_ieee_mode 1
		.amdhsa_fp16_overflow 0
		.amdhsa_workgroup_processor_mode 1
		.amdhsa_memory_ordered 1
		.amdhsa_forward_progress 1
		.amdhsa_shared_vgpr_count 0
		.amdhsa_exception_fp_ieee_invalid_op 0
		.amdhsa_exception_fp_denorm_src 0
		.amdhsa_exception_fp_ieee_div_zero 0
		.amdhsa_exception_fp_ieee_overflow 0
		.amdhsa_exception_fp_ieee_underflow 0
		.amdhsa_exception_fp_ieee_inexact 0
		.amdhsa_exception_int_div_zero 0
	.end_amdhsa_kernel
	.section	.text._ZN2at6native29vectorized_elementwise_kernelILi8EZZZNS0_12_GLOBAL__N_131spherical_bessel_j0_kernel_cudaERNS_18TensorIteratorBaseEENKUlvE_clEvENKUlvE_clEvEUldE_St5arrayIPcLm2EEEEviT0_T1_,"axG",@progbits,_ZN2at6native29vectorized_elementwise_kernelILi8EZZZNS0_12_GLOBAL__N_131spherical_bessel_j0_kernel_cudaERNS_18TensorIteratorBaseEENKUlvE_clEvENKUlvE_clEvEUldE_St5arrayIPcLm2EEEEviT0_T1_,comdat
.Lfunc_end1:
	.size	_ZN2at6native29vectorized_elementwise_kernelILi8EZZZNS0_12_GLOBAL__N_131spherical_bessel_j0_kernel_cudaERNS_18TensorIteratorBaseEENKUlvE_clEvENKUlvE_clEvEUldE_St5arrayIPcLm2EEEEviT0_T1_, .Lfunc_end1-_ZN2at6native29vectorized_elementwise_kernelILi8EZZZNS0_12_GLOBAL__N_131spherical_bessel_j0_kernel_cudaERNS_18TensorIteratorBaseEENKUlvE_clEvENKUlvE_clEvEUldE_St5arrayIPcLm2EEEEviT0_T1_
                                        ; -- End function
	.set _ZN2at6native29vectorized_elementwise_kernelILi8EZZZNS0_12_GLOBAL__N_131spherical_bessel_j0_kernel_cudaERNS_18TensorIteratorBaseEENKUlvE_clEvENKUlvE_clEvEUldE_St5arrayIPcLm2EEEEviT0_T1_.num_vgpr, 46
	.set _ZN2at6native29vectorized_elementwise_kernelILi8EZZZNS0_12_GLOBAL__N_131spherical_bessel_j0_kernel_cudaERNS_18TensorIteratorBaseEENKUlvE_clEvENKUlvE_clEvEUldE_St5arrayIPcLm2EEEEviT0_T1_.num_agpr, 0
	.set _ZN2at6native29vectorized_elementwise_kernelILi8EZZZNS0_12_GLOBAL__N_131spherical_bessel_j0_kernel_cudaERNS_18TensorIteratorBaseEENKUlvE_clEvENKUlvE_clEvEUldE_St5arrayIPcLm2EEEEviT0_T1_.numbered_sgpr, 18
	.set _ZN2at6native29vectorized_elementwise_kernelILi8EZZZNS0_12_GLOBAL__N_131spherical_bessel_j0_kernel_cudaERNS_18TensorIteratorBaseEENKUlvE_clEvENKUlvE_clEvEUldE_St5arrayIPcLm2EEEEviT0_T1_.num_named_barrier, 0
	.set _ZN2at6native29vectorized_elementwise_kernelILi8EZZZNS0_12_GLOBAL__N_131spherical_bessel_j0_kernel_cudaERNS_18TensorIteratorBaseEENKUlvE_clEvENKUlvE_clEvEUldE_St5arrayIPcLm2EEEEviT0_T1_.private_seg_size, 0
	.set _ZN2at6native29vectorized_elementwise_kernelILi8EZZZNS0_12_GLOBAL__N_131spherical_bessel_j0_kernel_cudaERNS_18TensorIteratorBaseEENKUlvE_clEvENKUlvE_clEvEUldE_St5arrayIPcLm2EEEEviT0_T1_.uses_vcc, 1
	.set _ZN2at6native29vectorized_elementwise_kernelILi8EZZZNS0_12_GLOBAL__N_131spherical_bessel_j0_kernel_cudaERNS_18TensorIteratorBaseEENKUlvE_clEvENKUlvE_clEvEUldE_St5arrayIPcLm2EEEEviT0_T1_.uses_flat_scratch, 0
	.set _ZN2at6native29vectorized_elementwise_kernelILi8EZZZNS0_12_GLOBAL__N_131spherical_bessel_j0_kernel_cudaERNS_18TensorIteratorBaseEENKUlvE_clEvENKUlvE_clEvEUldE_St5arrayIPcLm2EEEEviT0_T1_.has_dyn_sized_stack, 0
	.set _ZN2at6native29vectorized_elementwise_kernelILi8EZZZNS0_12_GLOBAL__N_131spherical_bessel_j0_kernel_cudaERNS_18TensorIteratorBaseEENKUlvE_clEvENKUlvE_clEvEUldE_St5arrayIPcLm2EEEEviT0_T1_.has_recursion, 0
	.set _ZN2at6native29vectorized_elementwise_kernelILi8EZZZNS0_12_GLOBAL__N_131spherical_bessel_j0_kernel_cudaERNS_18TensorIteratorBaseEENKUlvE_clEvENKUlvE_clEvEUldE_St5arrayIPcLm2EEEEviT0_T1_.has_indirect_call, 0
	.section	.AMDGPU.csdata,"",@progbits
; Kernel info:
; codeLenInByte = 13596
; TotalNumSgprs: 20
; NumVgprs: 46
; ScratchSize: 0
; MemoryBound: 1
; FloatMode: 240
; IeeeMode: 1
; LDSByteSize: 0 bytes/workgroup (compile time only)
; SGPRBlocks: 0
; VGPRBlocks: 5
; NumSGPRsForWavesPerEU: 20
; NumVGPRsForWavesPerEU: 46
; Occupancy: 16
; WaveLimiterHint : 0
; COMPUTE_PGM_RSRC2:SCRATCH_EN: 0
; COMPUTE_PGM_RSRC2:USER_SGPR: 6
; COMPUTE_PGM_RSRC2:TRAP_HANDLER: 0
; COMPUTE_PGM_RSRC2:TGID_X_EN: 1
; COMPUTE_PGM_RSRC2:TGID_Y_EN: 0
; COMPUTE_PGM_RSRC2:TGID_Z_EN: 0
; COMPUTE_PGM_RSRC2:TIDIG_COMP_CNT: 0
	.section	.text._ZN2at6native29vectorized_elementwise_kernelILi4EZZZNS0_12_GLOBAL__N_131spherical_bessel_j0_kernel_cudaERNS_18TensorIteratorBaseEENKUlvE_clEvENKUlvE_clEvEUldE_St5arrayIPcLm2EEEEviT0_T1_,"axG",@progbits,_ZN2at6native29vectorized_elementwise_kernelILi4EZZZNS0_12_GLOBAL__N_131spherical_bessel_j0_kernel_cudaERNS_18TensorIteratorBaseEENKUlvE_clEvENKUlvE_clEvEUldE_St5arrayIPcLm2EEEEviT0_T1_,comdat
	.globl	_ZN2at6native29vectorized_elementwise_kernelILi4EZZZNS0_12_GLOBAL__N_131spherical_bessel_j0_kernel_cudaERNS_18TensorIteratorBaseEENKUlvE_clEvENKUlvE_clEvEUldE_St5arrayIPcLm2EEEEviT0_T1_ ; -- Begin function _ZN2at6native29vectorized_elementwise_kernelILi4EZZZNS0_12_GLOBAL__N_131spherical_bessel_j0_kernel_cudaERNS_18TensorIteratorBaseEENKUlvE_clEvENKUlvE_clEvEUldE_St5arrayIPcLm2EEEEviT0_T1_
	.p2align	8
	.type	_ZN2at6native29vectorized_elementwise_kernelILi4EZZZNS0_12_GLOBAL__N_131spherical_bessel_j0_kernel_cudaERNS_18TensorIteratorBaseEENKUlvE_clEvENKUlvE_clEvEUldE_St5arrayIPcLm2EEEEviT0_T1_,@function
_ZN2at6native29vectorized_elementwise_kernelILi4EZZZNS0_12_GLOBAL__N_131spherical_bessel_j0_kernel_cudaERNS_18TensorIteratorBaseEENKUlvE_clEvENKUlvE_clEvEUldE_St5arrayIPcLm2EEEEviT0_T1_: ; @_ZN2at6native29vectorized_elementwise_kernelILi4EZZZNS0_12_GLOBAL__N_131spherical_bessel_j0_kernel_cudaERNS_18TensorIteratorBaseEENKUlvE_clEvENKUlvE_clEvEUldE_St5arrayIPcLm2EEEEviT0_T1_
; %bb.0:
	s_clause 0x1
	s_load_dword s0, s[4:5], 0x0
	s_load_dwordx4 s[8:11], s[4:5], 0x8
	s_lshl_b32 s2, s6, 10
	s_waitcnt lgkmcnt(0)
	s_sub_i32 s6, s0, s2
	s_mov_b32 s0, -1
	s_cmpk_gt_i32 s6, 0x3ff
	s_cbranch_scc0 .LBB2_42
; %bb.1:
	s_ashr_i32 s3, s2, 31
	v_lshlrev_b32_e32 v15, 5, v0
	s_lshl_b64 s[4:5], s[2:3], 3
	v_mov_b32_e32 v3, 0
	s_add_u32 s0, s10, s4
	s_addc_u32 s1, s11, s5
	v_mov_b32_e32 v1, 0
	s_clause 0x1
	global_load_dwordx4 v[9:12], v15, s[0:1]
	global_load_dwordx4 v[5:8], v15, s[0:1] offset:16
	v_mov_b32_e32 v4, 0
	v_mov_b32_e32 v2, 0
	s_mov_b32 s1, exec_lo
	s_waitcnt vmcnt(1)
	v_cmpx_neq_f64_e64 0x7ff00000, |v[9:10]|
	s_cbranch_execz .LBB2_11
; %bb.2:
	s_mov_b32 s3, exec_lo
	v_cmpx_nlt_f64_e64 |v[9:10]|, 0.5
	s_xor_b32 s3, exec_lo, s3
	s_cbranch_execz .LBB2_8
; %bb.3:
	v_cmp_ngt_f64_e64 s0, 0x41d00000, |v[9:10]|
                                        ; implicit-def: $vgpr16
                                        ; implicit-def: $vgpr1_vgpr2
                                        ; implicit-def: $vgpr13_vgpr14
	s_and_saveexec_b32 s7, s0
	s_xor_b32 s0, exec_lo, s7
	s_cbranch_execz .LBB2_5
; %bb.4:
	v_ldexp_f64 v[1:2], |v[9:10]|, 0xffffff80
	v_cmp_le_f64_e64 vcc_lo, 0x7b000000, |v[9:10]|
	v_trig_preop_f64 v[13:14], |v[9:10]|, 0
	v_and_b32_e32 v16, 0x7fffffff, v10
	v_trig_preop_f64 v[26:27], |v[9:10]|, 2
	v_mov_b32_e32 v34, 0
	s_mov_b32 s12, 0x54442d18
	s_mov_b32 s13, 0x3ff921fb
	;; [unrolled: 1-line block ×4, first 2 shown]
	v_cndmask_b32_e32 v2, v16, v2, vcc_lo
	v_cndmask_b32_e32 v1, v9, v1, vcc_lo
	v_trig_preop_f64 v[16:17], |v[9:10]|, 1
	v_mul_f64 v[18:19], v[13:14], v[1:2]
	v_mul_f64 v[32:33], v[26:27], v[1:2]
	;; [unrolled: 1-line block ×3, first 2 shown]
	v_fma_f64 v[13:14], v[13:14], v[1:2], -v[18:19]
	v_fma_f64 v[16:17], v[16:17], v[1:2], -v[20:21]
	;; [unrolled: 1-line block ×3, first 2 shown]
	v_add_f64 v[22:23], v[20:21], v[13:14]
	v_add_f64 v[24:25], v[22:23], -v[20:21]
	v_add_f64 v[30:31], v[18:19], v[22:23]
	v_add_f64 v[28:29], v[22:23], -v[24:25]
	v_add_f64 v[13:14], v[13:14], -v[24:25]
	v_ldexp_f64 v[24:25], v[30:31], -2
	v_add_f64 v[18:19], v[30:31], -v[18:19]
	v_add_f64 v[20:21], v[20:21], -v[28:29]
	v_add_f64 v[28:29], v[32:33], v[16:17]
	v_cmp_neq_f64_e64 vcc_lo, 0x7ff00000, |v[24:25]|
	v_add_f64 v[18:19], v[22:23], -v[18:19]
	v_add_f64 v[13:14], v[13:14], v[20:21]
	v_fract_f64_e32 v[20:21], v[24:25]
	v_add_f64 v[22:23], v[28:29], v[13:14]
	v_ldexp_f64 v[20:21], v[20:21], 2
	v_add_f64 v[24:25], v[18:19], v[22:23]
	v_cndmask_b32_e32 v21, 0, v21, vcc_lo
	v_cndmask_b32_e32 v20, 0, v20, vcc_lo
	v_add_f64 v[30:31], v[24:25], v[20:21]
	v_add_f64 v[18:19], v[24:25], -v[18:19]
	v_cmp_gt_f64_e32 vcc_lo, 0, v[30:31]
	v_add_f64 v[30:31], v[28:29], -v[32:33]
	v_cndmask_b32_e64 v35, 0, 0x40100000, vcc_lo
	v_add_f64 v[39:40], v[28:29], -v[30:31]
	v_add_f64 v[16:17], v[16:17], -v[30:31]
	v_add_f64 v[20:21], v[20:21], v[34:35]
	v_add_f64 v[35:36], v[22:23], -v[28:29]
	v_add_f64 v[30:31], v[32:33], -v[39:40]
	v_add_f64 v[37:38], v[24:25], v[20:21]
	;; [unrolled: 3-line block ×3, first 2 shown]
	v_cvt_i32_f64_e32 v37, v[37:38]
	v_add_f64 v[28:29], v[28:29], -v[41:42]
	v_cvt_f64_i32_e32 v[35:36], v37
	v_add_f64 v[13:14], v[13:14], v[28:29]
	v_add_f64 v[20:21], v[20:21], -v[35:36]
	v_add_f64 v[13:14], v[16:17], v[13:14]
	v_add_f64 v[16:17], v[22:23], -v[18:19]
	v_add_f64 v[26:27], v[24:25], v[20:21]
	v_add_f64 v[1:2], v[1:2], v[13:14]
	v_add_f64 v[13:14], v[26:27], -v[20:21]
	v_cmp_le_f64_e32 vcc_lo, 0.5, v[26:27]
	v_add_f64 v[1:2], v[16:17], v[1:2]
	v_add_f64 v[13:14], v[24:25], -v[13:14]
	v_cndmask_b32_e64 v35, 0, 0x3ff00000, vcc_lo
	v_add_co_ci_u32_e64 v16, null, 0, v37, vcc_lo
	v_add_f64 v[1:2], v[1:2], v[13:14]
	v_add_f64 v[13:14], v[26:27], -v[34:35]
	v_add_f64 v[17:18], v[13:14], v[1:2]
	v_mul_f64 v[19:20], v[17:18], s[12:13]
	v_add_f64 v[13:14], v[17:18], -v[13:14]
	v_fma_f64 v[21:22], v[17:18], s[12:13], -v[19:20]
	v_add_f64 v[1:2], v[1:2], -v[13:14]
	v_fma_f64 v[13:14], v[17:18], s[14:15], v[21:22]
	v_fma_f64 v[13:14], v[1:2], s[12:13], v[13:14]
	v_add_f64 v[1:2], v[19:20], v[13:14]
	v_add_f64 v[17:18], v[1:2], -v[19:20]
	v_add_f64 v[13:14], v[13:14], -v[17:18]
.LBB2_5:
	s_andn2_saveexec_b32 s0, s0
	s_cbranch_execz .LBB2_7
; %bb.6:
	s_mov_b32 s12, 0x6dc9c883
	s_mov_b32 s13, 0x3fe45f30
	;; [unrolled: 1-line block ×3, first 2 shown]
	v_mul_f64 v[1:2], |v[9:10]|, s[12:13]
	s_mov_b32 s12, 0x54442d18
	s_mov_b32 s13, 0xbff921fb
	;; [unrolled: 1-line block ×3, first 2 shown]
	v_rndne_f64_e32 v[16:17], v[1:2]
	v_fma_f64 v[1:2], v[16:17], s[12:13], |v[9:10]|
	v_mul_f64 v[13:14], v[16:17], s[14:15]
	s_mov_b32 s12, 0x252049c0
	s_mov_b32 s13, 0xb97b839a
	v_fma_f64 v[20:21], v[16:17], s[14:15], v[1:2]
	v_add_f64 v[18:19], v[1:2], v[13:14]
	s_mov_b32 s15, 0x3c91a626
	v_add_f64 v[1:2], v[1:2], -v[18:19]
	v_add_f64 v[18:19], v[18:19], -v[20:21]
	v_add_f64 v[1:2], v[1:2], v[13:14]
	v_fma_f64 v[13:14], v[16:17], s[14:15], v[13:14]
	v_add_f64 v[1:2], v[18:19], v[1:2]
	v_add_f64 v[1:2], v[1:2], -v[13:14]
	v_fma_f64 v[13:14], v[16:17], s[12:13], v[1:2]
	v_cvt_i32_f64_e32 v16, v[16:17]
	v_add_f64 v[1:2], v[20:21], v[13:14]
	v_add_f64 v[18:19], v[1:2], -v[20:21]
	v_add_f64 v[13:14], v[13:14], -v[18:19]
.LBB2_7:
	s_or_b32 exec_lo, exec_lo, s0
	v_mul_f64 v[17:18], v[1:2], v[1:2]
	s_mov_b32 s12, 0xb42fdfa7
	s_mov_b32 s14, 0xf9a43bb8
	;; [unrolled: 1-line block ×6, first 2 shown]
	v_mul_f64 v[27:28], v[13:14], 0.5
	v_cmp_class_f64_e64 s0, v[9:10], 0x1f8
	v_fma_f64 v[19:20], v[17:18], s[14:15], s[12:13]
	s_mov_b32 s12, 0x9037ab78
	s_mov_b32 s14, 0x46cc5e42
	;; [unrolled: 1-line block ×4, first 2 shown]
	v_mul_f64 v[23:24], v[17:18], 0.5
	v_fma_f64 v[21:22], v[17:18], s[14:15], s[12:13]
	s_mov_b32 s12, 0xa17f65f6
	s_mov_b32 s14, 0x19e83e5c
	;; [unrolled: 1-line block ×4, first 2 shown]
	v_mul_f64 v[29:30], v[1:2], -v[17:18]
	v_fma_f64 v[19:20], v[17:18], v[19:20], s[16:17]
	v_add_f64 v[25:26], -v[23:24], 1.0
	v_fma_f64 v[21:22], v[17:18], v[21:22], s[12:13]
	s_mov_b32 s12, 0x19f4ec90
	s_mov_b32 s13, 0x3efa01a0
	v_fma_f64 v[19:20], v[17:18], v[19:20], s[14:15]
	s_mov_b32 s14, 0x11110bb3
	s_mov_b32 s15, 0x3f811111
	v_add_f64 v[31:32], -v[25:26], 1.0
	v_fma_f64 v[21:22], v[17:18], v[21:22], s[12:13]
	s_mov_b32 s12, 0x16c16967
	s_mov_b32 s13, 0xbf56c16c
	v_fma_f64 v[19:20], v[17:18], v[19:20], s[14:15]
	v_add_f64 v[23:24], v[31:32], -v[23:24]
	v_fma_f64 v[21:22], v[17:18], v[21:22], s[12:13]
	s_mov_b32 s13, 0x3fa55555
	s_mov_b32 s12, 0x55555555
	v_fma_f64 v[19:20], v[29:30], v[19:20], v[27:28]
	v_mul_f64 v[27:28], v[17:18], v[17:18]
	v_fma_f64 v[23:24], v[1:2], -v[13:14], v[23:24]
	v_fma_f64 v[21:22], v[17:18], v[21:22], s[12:13]
	s_mov_b32 s13, 0xbfc55555
	v_fma_f64 v[13:14], v[17:18], v[19:20], -v[13:14]
	v_fma_f64 v[17:18], v[27:28], v[21:22], v[23:24]
	v_fma_f64 v[13:14], v[29:30], s[12:13], v[13:14]
	v_add_f64 v[17:18], v[25:26], v[17:18]
	v_add_f64 v[1:2], v[1:2], -v[13:14]
	v_and_b32_e32 v13, 1, v16
	v_cmp_eq_u32_e32 vcc_lo, 0, v13
	v_lshlrev_b32_e32 v13, 30, v16
	v_xor_b32_e32 v13, v13, v10
	v_and_b32_e32 v13, 0x80000000, v13
	v_cndmask_b32_e32 v2, v18, v2, vcc_lo
	v_cndmask_b32_e32 v1, v17, v1, vcc_lo
	v_xor_b32_e32 v2, v2, v13
	v_cndmask_b32_e64 v1, 0, v1, s0
	v_cndmask_b32_e64 v2, 0x7ff80000, v2, s0
	v_div_scale_f64 v[13:14], null, v[9:10], v[9:10], v[1:2]
	v_rcp_f64_e32 v[16:17], v[13:14]
	v_fma_f64 v[18:19], -v[13:14], v[16:17], 1.0
	v_fma_f64 v[16:17], v[16:17], v[18:19], v[16:17]
	v_fma_f64 v[18:19], -v[13:14], v[16:17], 1.0
	v_fma_f64 v[16:17], v[16:17], v[18:19], v[16:17]
	v_div_scale_f64 v[18:19], vcc_lo, v[1:2], v[9:10], v[1:2]
	v_mul_f64 v[20:21], v[18:19], v[16:17]
	v_fma_f64 v[13:14], -v[13:14], v[20:21], v[18:19]
	v_div_fmas_f64 v[13:14], v[13:14], v[16:17], v[20:21]
	v_div_fixup_f64 v[1:2], v[13:14], v[9:10], v[1:2]
.LBB2_8:
	s_andn2_saveexec_b32 s0, s3
	s_cbranch_execz .LBB2_10
; %bb.9:
	v_mul_f64 v[1:2], v[9:10], v[9:10]
	s_mov_b32 s12, 0x67f544e4
	s_mov_b32 s14, 0x13a86d09
	;; [unrolled: 1-line block ×4, first 2 shown]
	v_fma_f64 v[9:10], v[1:2], s[14:15], s[12:13]
	s_mov_b32 s12, 0xa556c734
	s_mov_b32 s13, 0x3ec71de3
	v_fma_f64 v[9:10], v[1:2], v[9:10], s[12:13]
	s_mov_b32 s12, 0x1a01a01a
	s_mov_b32 s13, 0xbf2a01a0
	;; [unrolled: 3-line block ×4, first 2 shown]
	v_fma_f64 v[9:10], v[1:2], v[9:10], s[12:13]
	v_fma_f64 v[1:2], v[1:2], v[9:10], 1.0
.LBB2_10:
	s_or_b32 exec_lo, exec_lo, s0
.LBB2_11:
	s_or_b32 exec_lo, exec_lo, s1
	s_mov_b32 s1, exec_lo
	v_cmpx_neq_f64_e64 0x7ff00000, |v[11:12]|
	s_cbranch_execz .LBB2_21
; %bb.12:
	s_mov_b32 s3, exec_lo
	v_cmpx_nlt_f64_e64 |v[11:12]|, 0.5
	s_xor_b32 s3, exec_lo, s3
	s_cbranch_execz .LBB2_18
; %bb.13:
	v_cmp_ngt_f64_e64 s0, 0x41d00000, |v[11:12]|
                                        ; implicit-def: $vgpr13
                                        ; implicit-def: $vgpr3_vgpr4
                                        ; implicit-def: $vgpr9_vgpr10
	s_and_saveexec_b32 s7, s0
	s_xor_b32 s0, exec_lo, s7
	s_cbranch_execz .LBB2_15
; %bb.14:
	v_ldexp_f64 v[3:4], |v[11:12]|, 0xffffff80
	v_cmp_le_f64_e64 vcc_lo, 0x7b000000, |v[11:12]|
	v_trig_preop_f64 v[9:10], |v[11:12]|, 0
	v_and_b32_e32 v13, 0x7fffffff, v12
	v_trig_preop_f64 v[24:25], |v[11:12]|, 2
	v_mov_b32_e32 v32, 0
	s_mov_b32 s12, 0x54442d18
	s_mov_b32 s13, 0x3ff921fb
	;; [unrolled: 1-line block ×4, first 2 shown]
	v_cndmask_b32_e32 v4, v13, v4, vcc_lo
	v_cndmask_b32_e32 v3, v11, v3, vcc_lo
	v_trig_preop_f64 v[13:14], |v[11:12]|, 1
	v_mul_f64 v[16:17], v[9:10], v[3:4]
	v_mul_f64 v[30:31], v[24:25], v[3:4]
	;; [unrolled: 1-line block ×3, first 2 shown]
	v_fma_f64 v[9:10], v[9:10], v[3:4], -v[16:17]
	v_fma_f64 v[13:14], v[13:14], v[3:4], -v[18:19]
	;; [unrolled: 1-line block ×3, first 2 shown]
	v_add_f64 v[20:21], v[18:19], v[9:10]
	v_add_f64 v[22:23], v[20:21], -v[18:19]
	v_add_f64 v[28:29], v[16:17], v[20:21]
	v_add_f64 v[26:27], v[20:21], -v[22:23]
	v_add_f64 v[9:10], v[9:10], -v[22:23]
	v_ldexp_f64 v[22:23], v[28:29], -2
	v_add_f64 v[16:17], v[28:29], -v[16:17]
	v_add_f64 v[18:19], v[18:19], -v[26:27]
	v_add_f64 v[26:27], v[30:31], v[13:14]
	v_cmp_neq_f64_e64 vcc_lo, 0x7ff00000, |v[22:23]|
	v_add_f64 v[16:17], v[20:21], -v[16:17]
	v_add_f64 v[9:10], v[9:10], v[18:19]
	v_fract_f64_e32 v[18:19], v[22:23]
	v_add_f64 v[20:21], v[26:27], v[9:10]
	v_ldexp_f64 v[18:19], v[18:19], 2
	v_add_f64 v[22:23], v[16:17], v[20:21]
	v_cndmask_b32_e32 v19, 0, v19, vcc_lo
	v_cndmask_b32_e32 v18, 0, v18, vcc_lo
	v_add_f64 v[28:29], v[22:23], v[18:19]
	v_add_f64 v[16:17], v[22:23], -v[16:17]
	v_cmp_gt_f64_e32 vcc_lo, 0, v[28:29]
	v_add_f64 v[28:29], v[26:27], -v[30:31]
	v_cndmask_b32_e64 v33, 0, 0x40100000, vcc_lo
	v_add_f64 v[37:38], v[26:27], -v[28:29]
	v_add_f64 v[13:14], v[13:14], -v[28:29]
	v_add_f64 v[18:19], v[18:19], v[32:33]
	v_add_f64 v[33:34], v[20:21], -v[26:27]
	v_add_f64 v[28:29], v[30:31], -v[37:38]
	v_add_f64 v[35:36], v[22:23], v[18:19]
	;; [unrolled: 3-line block ×3, first 2 shown]
	v_cvt_i32_f64_e32 v35, v[35:36]
	v_add_f64 v[26:27], v[26:27], -v[39:40]
	v_cvt_f64_i32_e32 v[33:34], v35
	v_add_f64 v[9:10], v[9:10], v[26:27]
	v_add_f64 v[18:19], v[18:19], -v[33:34]
	v_add_f64 v[9:10], v[13:14], v[9:10]
	v_add_f64 v[13:14], v[20:21], -v[16:17]
	v_add_f64 v[24:25], v[22:23], v[18:19]
	v_add_f64 v[3:4], v[3:4], v[9:10]
	v_add_f64 v[9:10], v[24:25], -v[18:19]
	v_cmp_le_f64_e32 vcc_lo, 0.5, v[24:25]
	v_add_f64 v[3:4], v[13:14], v[3:4]
	v_add_f64 v[9:10], v[22:23], -v[9:10]
	v_cndmask_b32_e64 v33, 0, 0x3ff00000, vcc_lo
	v_add_co_ci_u32_e64 v13, null, 0, v35, vcc_lo
	v_add_f64 v[3:4], v[3:4], v[9:10]
	v_add_f64 v[9:10], v[24:25], -v[32:33]
	v_add_f64 v[16:17], v[9:10], v[3:4]
	v_mul_f64 v[18:19], v[16:17], s[12:13]
	v_add_f64 v[9:10], v[16:17], -v[9:10]
	v_fma_f64 v[20:21], v[16:17], s[12:13], -v[18:19]
	v_add_f64 v[3:4], v[3:4], -v[9:10]
	v_fma_f64 v[9:10], v[16:17], s[14:15], v[20:21]
	v_fma_f64 v[9:10], v[3:4], s[12:13], v[9:10]
	v_add_f64 v[3:4], v[18:19], v[9:10]
	v_add_f64 v[16:17], v[3:4], -v[18:19]
	v_add_f64 v[9:10], v[9:10], -v[16:17]
.LBB2_15:
	s_andn2_saveexec_b32 s0, s0
	s_cbranch_execz .LBB2_17
; %bb.16:
	s_mov_b32 s12, 0x6dc9c883
	s_mov_b32 s13, 0x3fe45f30
	s_mov_b32 s15, 0xbc91a626
	v_mul_f64 v[3:4], |v[11:12]|, s[12:13]
	s_mov_b32 s12, 0x54442d18
	s_mov_b32 s13, 0xbff921fb
	;; [unrolled: 1-line block ×3, first 2 shown]
	v_rndne_f64_e32 v[13:14], v[3:4]
	v_fma_f64 v[3:4], v[13:14], s[12:13], |v[11:12]|
	v_mul_f64 v[9:10], v[13:14], s[14:15]
	s_mov_b32 s12, 0x252049c0
	s_mov_b32 s13, 0xb97b839a
	v_fma_f64 v[18:19], v[13:14], s[14:15], v[3:4]
	v_add_f64 v[16:17], v[3:4], v[9:10]
	s_mov_b32 s15, 0x3c91a626
	v_add_f64 v[3:4], v[3:4], -v[16:17]
	v_add_f64 v[16:17], v[16:17], -v[18:19]
	v_add_f64 v[3:4], v[3:4], v[9:10]
	v_fma_f64 v[9:10], v[13:14], s[14:15], v[9:10]
	v_add_f64 v[3:4], v[16:17], v[3:4]
	v_add_f64 v[3:4], v[3:4], -v[9:10]
	v_fma_f64 v[9:10], v[13:14], s[12:13], v[3:4]
	v_cvt_i32_f64_e32 v13, v[13:14]
	v_add_f64 v[3:4], v[18:19], v[9:10]
	v_add_f64 v[16:17], v[3:4], -v[18:19]
	v_add_f64 v[9:10], v[9:10], -v[16:17]
.LBB2_17:
	s_or_b32 exec_lo, exec_lo, s0
	v_mul_f64 v[16:17], v[3:4], v[3:4]
	s_mov_b32 s12, 0xb42fdfa7
	s_mov_b32 s14, 0xf9a43bb8
	;; [unrolled: 1-line block ×6, first 2 shown]
	v_mul_f64 v[26:27], v[9:10], 0.5
	v_cmp_class_f64_e64 s0, v[11:12], 0x1f8
	v_fma_f64 v[18:19], v[16:17], s[14:15], s[12:13]
	s_mov_b32 s12, 0x9037ab78
	s_mov_b32 s14, 0x46cc5e42
	;; [unrolled: 1-line block ×4, first 2 shown]
	v_mul_f64 v[22:23], v[16:17], 0.5
	v_fma_f64 v[20:21], v[16:17], s[14:15], s[12:13]
	s_mov_b32 s12, 0xa17f65f6
	s_mov_b32 s14, 0x19e83e5c
	;; [unrolled: 1-line block ×4, first 2 shown]
	v_mul_f64 v[28:29], v[3:4], -v[16:17]
	v_fma_f64 v[18:19], v[16:17], v[18:19], s[16:17]
	v_add_f64 v[24:25], -v[22:23], 1.0
	v_fma_f64 v[20:21], v[16:17], v[20:21], s[12:13]
	s_mov_b32 s12, 0x19f4ec90
	s_mov_b32 s13, 0x3efa01a0
	v_fma_f64 v[18:19], v[16:17], v[18:19], s[14:15]
	s_mov_b32 s14, 0x11110bb3
	s_mov_b32 s15, 0x3f811111
	v_add_f64 v[30:31], -v[24:25], 1.0
	v_fma_f64 v[20:21], v[16:17], v[20:21], s[12:13]
	s_mov_b32 s12, 0x16c16967
	s_mov_b32 s13, 0xbf56c16c
	v_fma_f64 v[18:19], v[16:17], v[18:19], s[14:15]
	v_add_f64 v[22:23], v[30:31], -v[22:23]
	v_fma_f64 v[20:21], v[16:17], v[20:21], s[12:13]
	s_mov_b32 s13, 0x3fa55555
	s_mov_b32 s12, 0x55555555
	v_fma_f64 v[18:19], v[28:29], v[18:19], v[26:27]
	v_mul_f64 v[26:27], v[16:17], v[16:17]
	v_fma_f64 v[22:23], v[3:4], -v[9:10], v[22:23]
	v_fma_f64 v[20:21], v[16:17], v[20:21], s[12:13]
	s_mov_b32 s13, 0xbfc55555
	v_fma_f64 v[9:10], v[16:17], v[18:19], -v[9:10]
	v_fma_f64 v[16:17], v[26:27], v[20:21], v[22:23]
	v_fma_f64 v[9:10], v[28:29], s[12:13], v[9:10]
	v_add_f64 v[16:17], v[24:25], v[16:17]
	v_add_f64 v[3:4], v[3:4], -v[9:10]
	v_and_b32_e32 v9, 1, v13
	v_cmp_eq_u32_e32 vcc_lo, 0, v9
	v_lshlrev_b32_e32 v9, 30, v13
	v_xor_b32_e32 v9, v9, v12
	v_and_b32_e32 v9, 0x80000000, v9
	v_cndmask_b32_e32 v4, v17, v4, vcc_lo
	v_cndmask_b32_e32 v3, v16, v3, vcc_lo
	v_xor_b32_e32 v4, v4, v9
	v_cndmask_b32_e64 v3, 0, v3, s0
	v_cndmask_b32_e64 v4, 0x7ff80000, v4, s0
	v_div_scale_f64 v[9:10], null, v[11:12], v[11:12], v[3:4]
	v_rcp_f64_e32 v[13:14], v[9:10]
	v_fma_f64 v[16:17], -v[9:10], v[13:14], 1.0
	v_fma_f64 v[13:14], v[13:14], v[16:17], v[13:14]
	v_fma_f64 v[16:17], -v[9:10], v[13:14], 1.0
	v_fma_f64 v[13:14], v[13:14], v[16:17], v[13:14]
	v_div_scale_f64 v[16:17], vcc_lo, v[3:4], v[11:12], v[3:4]
	v_mul_f64 v[18:19], v[16:17], v[13:14]
	v_fma_f64 v[9:10], -v[9:10], v[18:19], v[16:17]
	v_div_fmas_f64 v[9:10], v[9:10], v[13:14], v[18:19]
	v_div_fixup_f64 v[3:4], v[9:10], v[11:12], v[3:4]
                                        ; implicit-def: $vgpr11_vgpr12
.LBB2_18:
	s_andn2_saveexec_b32 s0, s3
	s_cbranch_execz .LBB2_20
; %bb.19:
	v_mul_f64 v[3:4], v[11:12], v[11:12]
	s_mov_b32 s12, 0x67f544e4
	s_mov_b32 s14, 0x13a86d09
	;; [unrolled: 1-line block ×4, first 2 shown]
	v_fma_f64 v[9:10], v[3:4], s[14:15], s[12:13]
	s_mov_b32 s12, 0xa556c734
	s_mov_b32 s13, 0x3ec71de3
	v_fma_f64 v[9:10], v[3:4], v[9:10], s[12:13]
	s_mov_b32 s12, 0x1a01a01a
	s_mov_b32 s13, 0xbf2a01a0
	;; [unrolled: 3-line block ×4, first 2 shown]
	v_fma_f64 v[9:10], v[3:4], v[9:10], s[12:13]
	v_fma_f64 v[3:4], v[3:4], v[9:10], 1.0
.LBB2_20:
	s_or_b32 exec_lo, exec_lo, s0
.LBB2_21:
	s_or_b32 exec_lo, exec_lo, s1
	v_mov_b32_e32 v11, 0
	v_mov_b32_e32 v9, 0
	;; [unrolled: 1-line block ×4, first 2 shown]
	s_mov_b32 s1, exec_lo
	s_waitcnt vmcnt(0)
	v_cmpx_neq_f64_e64 0x7ff00000, |v[5:6]|
	s_cbranch_execz .LBB2_31
; %bb.22:
	s_mov_b32 s3, exec_lo
	v_cmpx_nlt_f64_e64 |v[5:6]|, 0.5
	s_xor_b32 s3, exec_lo, s3
	s_cbranch_execz .LBB2_28
; %bb.23:
	v_cmp_ngt_f64_e64 s0, 0x41d00000, |v[5:6]|
                                        ; implicit-def: $vgpr16
                                        ; implicit-def: $vgpr9_vgpr10
                                        ; implicit-def: $vgpr13_vgpr14
	s_and_saveexec_b32 s7, s0
	s_xor_b32 s0, exec_lo, s7
	s_cbranch_execz .LBB2_25
; %bb.24:
	v_ldexp_f64 v[9:10], |v[5:6]|, 0xffffff80
	v_cmp_le_f64_e64 vcc_lo, 0x7b000000, |v[5:6]|
	v_trig_preop_f64 v[13:14], |v[5:6]|, 0
	v_and_b32_e32 v16, 0x7fffffff, v6
	v_trig_preop_f64 v[26:27], |v[5:6]|, 2
	v_mov_b32_e32 v34, 0
	s_mov_b32 s12, 0x54442d18
	s_mov_b32 s13, 0x3ff921fb
	;; [unrolled: 1-line block ×4, first 2 shown]
	v_cndmask_b32_e32 v10, v16, v10, vcc_lo
	v_cndmask_b32_e32 v9, v5, v9, vcc_lo
	v_trig_preop_f64 v[16:17], |v[5:6]|, 1
	v_mul_f64 v[18:19], v[13:14], v[9:10]
	v_mul_f64 v[32:33], v[26:27], v[9:10]
	;; [unrolled: 1-line block ×3, first 2 shown]
	v_fma_f64 v[13:14], v[13:14], v[9:10], -v[18:19]
	v_fma_f64 v[16:17], v[16:17], v[9:10], -v[20:21]
	;; [unrolled: 1-line block ×3, first 2 shown]
	v_add_f64 v[22:23], v[20:21], v[13:14]
	v_add_f64 v[24:25], v[22:23], -v[20:21]
	v_add_f64 v[30:31], v[18:19], v[22:23]
	v_add_f64 v[28:29], v[22:23], -v[24:25]
	v_add_f64 v[13:14], v[13:14], -v[24:25]
	v_ldexp_f64 v[24:25], v[30:31], -2
	v_add_f64 v[18:19], v[30:31], -v[18:19]
	v_add_f64 v[20:21], v[20:21], -v[28:29]
	v_add_f64 v[28:29], v[32:33], v[16:17]
	v_cmp_neq_f64_e64 vcc_lo, 0x7ff00000, |v[24:25]|
	v_add_f64 v[18:19], v[22:23], -v[18:19]
	v_add_f64 v[13:14], v[13:14], v[20:21]
	v_fract_f64_e32 v[20:21], v[24:25]
	v_add_f64 v[22:23], v[28:29], v[13:14]
	v_ldexp_f64 v[20:21], v[20:21], 2
	v_add_f64 v[24:25], v[18:19], v[22:23]
	v_cndmask_b32_e32 v21, 0, v21, vcc_lo
	v_cndmask_b32_e32 v20, 0, v20, vcc_lo
	v_add_f64 v[30:31], v[24:25], v[20:21]
	v_add_f64 v[18:19], v[24:25], -v[18:19]
	v_cmp_gt_f64_e32 vcc_lo, 0, v[30:31]
	v_add_f64 v[30:31], v[28:29], -v[32:33]
	v_cndmask_b32_e64 v35, 0, 0x40100000, vcc_lo
	v_add_f64 v[39:40], v[28:29], -v[30:31]
	v_add_f64 v[16:17], v[16:17], -v[30:31]
	v_add_f64 v[20:21], v[20:21], v[34:35]
	v_add_f64 v[35:36], v[22:23], -v[28:29]
	v_add_f64 v[30:31], v[32:33], -v[39:40]
	v_add_f64 v[37:38], v[24:25], v[20:21]
	;; [unrolled: 3-line block ×3, first 2 shown]
	v_cvt_i32_f64_e32 v37, v[37:38]
	v_add_f64 v[28:29], v[28:29], -v[41:42]
	v_cvt_f64_i32_e32 v[35:36], v37
	v_add_f64 v[13:14], v[13:14], v[28:29]
	v_add_f64 v[20:21], v[20:21], -v[35:36]
	v_add_f64 v[13:14], v[16:17], v[13:14]
	v_add_f64 v[16:17], v[22:23], -v[18:19]
	v_add_f64 v[26:27], v[24:25], v[20:21]
	v_add_f64 v[9:10], v[9:10], v[13:14]
	v_add_f64 v[13:14], v[26:27], -v[20:21]
	v_cmp_le_f64_e32 vcc_lo, 0.5, v[26:27]
	v_add_f64 v[9:10], v[16:17], v[9:10]
	v_add_f64 v[13:14], v[24:25], -v[13:14]
	v_cndmask_b32_e64 v35, 0, 0x3ff00000, vcc_lo
	v_add_co_ci_u32_e64 v16, null, 0, v37, vcc_lo
	v_add_f64 v[9:10], v[9:10], v[13:14]
	v_add_f64 v[13:14], v[26:27], -v[34:35]
	v_add_f64 v[17:18], v[13:14], v[9:10]
	v_mul_f64 v[19:20], v[17:18], s[12:13]
	v_add_f64 v[13:14], v[17:18], -v[13:14]
	v_fma_f64 v[21:22], v[17:18], s[12:13], -v[19:20]
	v_add_f64 v[9:10], v[9:10], -v[13:14]
	v_fma_f64 v[13:14], v[17:18], s[14:15], v[21:22]
	v_fma_f64 v[13:14], v[9:10], s[12:13], v[13:14]
	v_add_f64 v[9:10], v[19:20], v[13:14]
	v_add_f64 v[17:18], v[9:10], -v[19:20]
	v_add_f64 v[13:14], v[13:14], -v[17:18]
.LBB2_25:
	s_andn2_saveexec_b32 s0, s0
	s_cbranch_execz .LBB2_27
; %bb.26:
	s_mov_b32 s12, 0x6dc9c883
	s_mov_b32 s13, 0x3fe45f30
	s_mov_b32 s15, 0xbc91a626
	v_mul_f64 v[9:10], |v[5:6]|, s[12:13]
	s_mov_b32 s12, 0x54442d18
	s_mov_b32 s13, 0xbff921fb
	;; [unrolled: 1-line block ×3, first 2 shown]
	v_rndne_f64_e32 v[16:17], v[9:10]
	v_fma_f64 v[9:10], v[16:17], s[12:13], |v[5:6]|
	v_mul_f64 v[13:14], v[16:17], s[14:15]
	s_mov_b32 s12, 0x252049c0
	s_mov_b32 s13, 0xb97b839a
	v_fma_f64 v[20:21], v[16:17], s[14:15], v[9:10]
	v_add_f64 v[18:19], v[9:10], v[13:14]
	s_mov_b32 s15, 0x3c91a626
	v_add_f64 v[9:10], v[9:10], -v[18:19]
	v_add_f64 v[18:19], v[18:19], -v[20:21]
	v_add_f64 v[9:10], v[9:10], v[13:14]
	v_fma_f64 v[13:14], v[16:17], s[14:15], v[13:14]
	v_add_f64 v[9:10], v[18:19], v[9:10]
	v_add_f64 v[9:10], v[9:10], -v[13:14]
	v_fma_f64 v[13:14], v[16:17], s[12:13], v[9:10]
	v_cvt_i32_f64_e32 v16, v[16:17]
	v_add_f64 v[9:10], v[20:21], v[13:14]
	v_add_f64 v[18:19], v[9:10], -v[20:21]
	v_add_f64 v[13:14], v[13:14], -v[18:19]
.LBB2_27:
	s_or_b32 exec_lo, exec_lo, s0
	v_mul_f64 v[17:18], v[9:10], v[9:10]
	s_mov_b32 s12, 0xb42fdfa7
	s_mov_b32 s14, 0xf9a43bb8
	;; [unrolled: 1-line block ×6, first 2 shown]
	v_mul_f64 v[27:28], v[13:14], 0.5
	v_cmp_class_f64_e64 s0, v[5:6], 0x1f8
	v_fma_f64 v[19:20], v[17:18], s[14:15], s[12:13]
	s_mov_b32 s12, 0x9037ab78
	s_mov_b32 s14, 0x46cc5e42
	;; [unrolled: 1-line block ×4, first 2 shown]
	v_mul_f64 v[23:24], v[17:18], 0.5
	v_fma_f64 v[21:22], v[17:18], s[14:15], s[12:13]
	s_mov_b32 s12, 0xa17f65f6
	s_mov_b32 s14, 0x19e83e5c
	;; [unrolled: 1-line block ×4, first 2 shown]
	v_mul_f64 v[29:30], v[9:10], -v[17:18]
	v_fma_f64 v[19:20], v[17:18], v[19:20], s[16:17]
	v_add_f64 v[25:26], -v[23:24], 1.0
	v_fma_f64 v[21:22], v[17:18], v[21:22], s[12:13]
	s_mov_b32 s12, 0x19f4ec90
	s_mov_b32 s13, 0x3efa01a0
	v_fma_f64 v[19:20], v[17:18], v[19:20], s[14:15]
	s_mov_b32 s14, 0x11110bb3
	s_mov_b32 s15, 0x3f811111
	v_add_f64 v[31:32], -v[25:26], 1.0
	v_fma_f64 v[21:22], v[17:18], v[21:22], s[12:13]
	s_mov_b32 s12, 0x16c16967
	s_mov_b32 s13, 0xbf56c16c
	v_fma_f64 v[19:20], v[17:18], v[19:20], s[14:15]
	v_add_f64 v[23:24], v[31:32], -v[23:24]
	v_fma_f64 v[21:22], v[17:18], v[21:22], s[12:13]
	s_mov_b32 s13, 0x3fa55555
	s_mov_b32 s12, 0x55555555
	v_fma_f64 v[19:20], v[29:30], v[19:20], v[27:28]
	v_mul_f64 v[27:28], v[17:18], v[17:18]
	v_fma_f64 v[23:24], v[9:10], -v[13:14], v[23:24]
	v_fma_f64 v[21:22], v[17:18], v[21:22], s[12:13]
	s_mov_b32 s13, 0xbfc55555
	v_fma_f64 v[13:14], v[17:18], v[19:20], -v[13:14]
	v_fma_f64 v[17:18], v[27:28], v[21:22], v[23:24]
	v_fma_f64 v[13:14], v[29:30], s[12:13], v[13:14]
	v_add_f64 v[17:18], v[25:26], v[17:18]
	v_add_f64 v[9:10], v[9:10], -v[13:14]
	v_and_b32_e32 v13, 1, v16
	v_cmp_eq_u32_e32 vcc_lo, 0, v13
	v_lshlrev_b32_e32 v13, 30, v16
	v_xor_b32_e32 v13, v13, v6
	v_and_b32_e32 v13, 0x80000000, v13
	v_cndmask_b32_e32 v10, v18, v10, vcc_lo
	v_cndmask_b32_e32 v9, v17, v9, vcc_lo
	v_xor_b32_e32 v10, v10, v13
	v_cndmask_b32_e64 v9, 0, v9, s0
	v_cndmask_b32_e64 v10, 0x7ff80000, v10, s0
	v_div_scale_f64 v[13:14], null, v[5:6], v[5:6], v[9:10]
	v_rcp_f64_e32 v[16:17], v[13:14]
	v_fma_f64 v[18:19], -v[13:14], v[16:17], 1.0
	v_fma_f64 v[16:17], v[16:17], v[18:19], v[16:17]
	v_fma_f64 v[18:19], -v[13:14], v[16:17], 1.0
	v_fma_f64 v[16:17], v[16:17], v[18:19], v[16:17]
	v_div_scale_f64 v[18:19], vcc_lo, v[9:10], v[5:6], v[9:10]
	v_mul_f64 v[20:21], v[18:19], v[16:17]
	v_fma_f64 v[13:14], -v[13:14], v[20:21], v[18:19]
	v_div_fmas_f64 v[13:14], v[13:14], v[16:17], v[20:21]
	v_div_fixup_f64 v[9:10], v[13:14], v[5:6], v[9:10]
.LBB2_28:
	s_andn2_saveexec_b32 s0, s3
	s_cbranch_execz .LBB2_30
; %bb.29:
	v_mul_f64 v[5:6], v[5:6], v[5:6]
	s_mov_b32 s12, 0x67f544e4
	s_mov_b32 s14, 0x13a86d09
	;; [unrolled: 1-line block ×4, first 2 shown]
	v_fma_f64 v[9:10], v[5:6], s[14:15], s[12:13]
	s_mov_b32 s12, 0xa556c734
	s_mov_b32 s13, 0x3ec71de3
	v_fma_f64 v[9:10], v[5:6], v[9:10], s[12:13]
	s_mov_b32 s12, 0x1a01a01a
	s_mov_b32 s13, 0xbf2a01a0
	;; [unrolled: 3-line block ×4, first 2 shown]
	v_fma_f64 v[9:10], v[5:6], v[9:10], s[12:13]
	v_fma_f64 v[9:10], v[5:6], v[9:10], 1.0
.LBB2_30:
	s_or_b32 exec_lo, exec_lo, s0
.LBB2_31:
	s_or_b32 exec_lo, exec_lo, s1
	s_mov_b32 s1, exec_lo
	v_cmpx_neq_f64_e64 0x7ff00000, |v[7:8]|
	s_cbranch_execz .LBB2_41
; %bb.32:
	s_mov_b32 s3, exec_lo
	v_cmpx_nlt_f64_e64 |v[7:8]|, 0.5
	s_xor_b32 s3, exec_lo, s3
	s_cbranch_execz .LBB2_38
; %bb.33:
	v_cmp_ngt_f64_e64 s0, 0x41d00000, |v[7:8]|
                                        ; implicit-def: $vgpr13
                                        ; implicit-def: $vgpr5_vgpr6
                                        ; implicit-def: $vgpr11_vgpr12
	s_and_saveexec_b32 s7, s0
	s_xor_b32 s0, exec_lo, s7
	s_cbranch_execz .LBB2_35
; %bb.34:
	v_ldexp_f64 v[5:6], |v[7:8]|, 0xffffff80
	v_cmp_le_f64_e64 vcc_lo, 0x7b000000, |v[7:8]|
	v_trig_preop_f64 v[11:12], |v[7:8]|, 0
	v_and_b32_e32 v13, 0x7fffffff, v8
	v_trig_preop_f64 v[24:25], |v[7:8]|, 2
	v_mov_b32_e32 v32, 0
	s_mov_b32 s12, 0x54442d18
	s_mov_b32 s13, 0x3ff921fb
	s_mov_b32 s14, 0x33145c07
	s_mov_b32 s15, 0x3c91a626
	v_cndmask_b32_e32 v6, v13, v6, vcc_lo
	v_cndmask_b32_e32 v5, v7, v5, vcc_lo
	v_trig_preop_f64 v[13:14], |v[7:8]|, 1
	v_mul_f64 v[16:17], v[11:12], v[5:6]
	v_mul_f64 v[30:31], v[24:25], v[5:6]
	;; [unrolled: 1-line block ×3, first 2 shown]
	v_fma_f64 v[11:12], v[11:12], v[5:6], -v[16:17]
	v_fma_f64 v[13:14], v[13:14], v[5:6], -v[18:19]
	;; [unrolled: 1-line block ×3, first 2 shown]
	v_add_f64 v[20:21], v[18:19], v[11:12]
	v_add_f64 v[22:23], v[20:21], -v[18:19]
	v_add_f64 v[28:29], v[16:17], v[20:21]
	v_add_f64 v[26:27], v[20:21], -v[22:23]
	v_add_f64 v[11:12], v[11:12], -v[22:23]
	v_ldexp_f64 v[22:23], v[28:29], -2
	v_add_f64 v[16:17], v[28:29], -v[16:17]
	v_add_f64 v[18:19], v[18:19], -v[26:27]
	v_add_f64 v[26:27], v[30:31], v[13:14]
	v_cmp_neq_f64_e64 vcc_lo, 0x7ff00000, |v[22:23]|
	v_add_f64 v[16:17], v[20:21], -v[16:17]
	v_add_f64 v[11:12], v[11:12], v[18:19]
	v_fract_f64_e32 v[18:19], v[22:23]
	v_add_f64 v[20:21], v[26:27], v[11:12]
	v_ldexp_f64 v[18:19], v[18:19], 2
	v_add_f64 v[22:23], v[16:17], v[20:21]
	v_cndmask_b32_e32 v19, 0, v19, vcc_lo
	v_cndmask_b32_e32 v18, 0, v18, vcc_lo
	v_add_f64 v[28:29], v[22:23], v[18:19]
	v_add_f64 v[16:17], v[22:23], -v[16:17]
	v_cmp_gt_f64_e32 vcc_lo, 0, v[28:29]
	v_add_f64 v[28:29], v[26:27], -v[30:31]
	v_cndmask_b32_e64 v33, 0, 0x40100000, vcc_lo
	v_add_f64 v[37:38], v[26:27], -v[28:29]
	v_add_f64 v[13:14], v[13:14], -v[28:29]
	v_add_f64 v[18:19], v[18:19], v[32:33]
	v_add_f64 v[33:34], v[20:21], -v[26:27]
	v_add_f64 v[28:29], v[30:31], -v[37:38]
	v_add_f64 v[35:36], v[22:23], v[18:19]
	;; [unrolled: 3-line block ×3, first 2 shown]
	v_cvt_i32_f64_e32 v35, v[35:36]
	v_add_f64 v[26:27], v[26:27], -v[39:40]
	v_cvt_f64_i32_e32 v[33:34], v35
	v_add_f64 v[11:12], v[11:12], v[26:27]
	v_add_f64 v[18:19], v[18:19], -v[33:34]
	v_add_f64 v[11:12], v[13:14], v[11:12]
	v_add_f64 v[13:14], v[20:21], -v[16:17]
	v_add_f64 v[24:25], v[22:23], v[18:19]
	v_add_f64 v[5:6], v[5:6], v[11:12]
	v_add_f64 v[11:12], v[24:25], -v[18:19]
	v_cmp_le_f64_e32 vcc_lo, 0.5, v[24:25]
	v_add_f64 v[5:6], v[13:14], v[5:6]
	v_add_f64 v[11:12], v[22:23], -v[11:12]
	v_cndmask_b32_e64 v33, 0, 0x3ff00000, vcc_lo
	v_add_co_ci_u32_e64 v13, null, 0, v35, vcc_lo
	v_add_f64 v[5:6], v[5:6], v[11:12]
	v_add_f64 v[11:12], v[24:25], -v[32:33]
	v_add_f64 v[16:17], v[11:12], v[5:6]
	v_mul_f64 v[18:19], v[16:17], s[12:13]
	v_add_f64 v[11:12], v[16:17], -v[11:12]
	v_fma_f64 v[20:21], v[16:17], s[12:13], -v[18:19]
	v_add_f64 v[5:6], v[5:6], -v[11:12]
	v_fma_f64 v[11:12], v[16:17], s[14:15], v[20:21]
	v_fma_f64 v[11:12], v[5:6], s[12:13], v[11:12]
	v_add_f64 v[5:6], v[18:19], v[11:12]
	v_add_f64 v[16:17], v[5:6], -v[18:19]
	v_add_f64 v[11:12], v[11:12], -v[16:17]
.LBB2_35:
	s_andn2_saveexec_b32 s0, s0
	s_cbranch_execz .LBB2_37
; %bb.36:
	s_mov_b32 s12, 0x6dc9c883
	s_mov_b32 s13, 0x3fe45f30
	;; [unrolled: 1-line block ×3, first 2 shown]
	v_mul_f64 v[5:6], |v[7:8]|, s[12:13]
	s_mov_b32 s12, 0x54442d18
	s_mov_b32 s13, 0xbff921fb
	;; [unrolled: 1-line block ×3, first 2 shown]
	v_rndne_f64_e32 v[13:14], v[5:6]
	v_fma_f64 v[5:6], v[13:14], s[12:13], |v[7:8]|
	v_mul_f64 v[11:12], v[13:14], s[14:15]
	s_mov_b32 s12, 0x252049c0
	s_mov_b32 s13, 0xb97b839a
	v_fma_f64 v[18:19], v[13:14], s[14:15], v[5:6]
	v_add_f64 v[16:17], v[5:6], v[11:12]
	s_mov_b32 s15, 0x3c91a626
	v_add_f64 v[5:6], v[5:6], -v[16:17]
	v_add_f64 v[16:17], v[16:17], -v[18:19]
	v_add_f64 v[5:6], v[5:6], v[11:12]
	v_fma_f64 v[11:12], v[13:14], s[14:15], v[11:12]
	v_add_f64 v[5:6], v[16:17], v[5:6]
	v_add_f64 v[5:6], v[5:6], -v[11:12]
	v_fma_f64 v[11:12], v[13:14], s[12:13], v[5:6]
	v_cvt_i32_f64_e32 v13, v[13:14]
	v_add_f64 v[5:6], v[18:19], v[11:12]
	v_add_f64 v[16:17], v[5:6], -v[18:19]
	v_add_f64 v[11:12], v[11:12], -v[16:17]
.LBB2_37:
	s_or_b32 exec_lo, exec_lo, s0
	v_mul_f64 v[16:17], v[5:6], v[5:6]
	s_mov_b32 s12, 0xb42fdfa7
	s_mov_b32 s14, 0xf9a43bb8
	;; [unrolled: 1-line block ×6, first 2 shown]
	v_mul_f64 v[26:27], v[11:12], 0.5
	v_cmp_class_f64_e64 s0, v[7:8], 0x1f8
	v_fma_f64 v[18:19], v[16:17], s[14:15], s[12:13]
	s_mov_b32 s12, 0x9037ab78
	s_mov_b32 s14, 0x46cc5e42
	;; [unrolled: 1-line block ×4, first 2 shown]
	v_mul_f64 v[22:23], v[16:17], 0.5
	v_fma_f64 v[20:21], v[16:17], s[14:15], s[12:13]
	s_mov_b32 s12, 0xa17f65f6
	s_mov_b32 s14, 0x19e83e5c
	;; [unrolled: 1-line block ×4, first 2 shown]
	v_mul_f64 v[28:29], v[5:6], -v[16:17]
	v_fma_f64 v[18:19], v[16:17], v[18:19], s[16:17]
	v_add_f64 v[24:25], -v[22:23], 1.0
	v_fma_f64 v[20:21], v[16:17], v[20:21], s[12:13]
	s_mov_b32 s12, 0x19f4ec90
	s_mov_b32 s13, 0x3efa01a0
	v_fma_f64 v[18:19], v[16:17], v[18:19], s[14:15]
	s_mov_b32 s14, 0x11110bb3
	s_mov_b32 s15, 0x3f811111
	v_add_f64 v[30:31], -v[24:25], 1.0
	v_fma_f64 v[20:21], v[16:17], v[20:21], s[12:13]
	s_mov_b32 s12, 0x16c16967
	s_mov_b32 s13, 0xbf56c16c
	v_fma_f64 v[18:19], v[16:17], v[18:19], s[14:15]
	v_add_f64 v[22:23], v[30:31], -v[22:23]
	v_fma_f64 v[20:21], v[16:17], v[20:21], s[12:13]
	s_mov_b32 s13, 0x3fa55555
	s_mov_b32 s12, 0x55555555
	v_fma_f64 v[18:19], v[28:29], v[18:19], v[26:27]
	v_mul_f64 v[26:27], v[16:17], v[16:17]
	v_fma_f64 v[22:23], v[5:6], -v[11:12], v[22:23]
	v_fma_f64 v[20:21], v[16:17], v[20:21], s[12:13]
	s_mov_b32 s13, 0xbfc55555
	v_fma_f64 v[11:12], v[16:17], v[18:19], -v[11:12]
	v_fma_f64 v[16:17], v[26:27], v[20:21], v[22:23]
	v_fma_f64 v[11:12], v[28:29], s[12:13], v[11:12]
	v_add_f64 v[16:17], v[24:25], v[16:17]
	v_add_f64 v[5:6], v[5:6], -v[11:12]
	v_and_b32_e32 v11, 1, v13
	v_cmp_eq_u32_e32 vcc_lo, 0, v11
	v_lshlrev_b32_e32 v11, 30, v13
	v_xor_b32_e32 v11, v11, v8
	v_and_b32_e32 v11, 0x80000000, v11
	v_cndmask_b32_e32 v6, v17, v6, vcc_lo
	v_cndmask_b32_e32 v5, v16, v5, vcc_lo
	v_xor_b32_e32 v6, v6, v11
	v_cndmask_b32_e64 v5, 0, v5, s0
	v_cndmask_b32_e64 v6, 0x7ff80000, v6, s0
	v_div_scale_f64 v[11:12], null, v[7:8], v[7:8], v[5:6]
	v_rcp_f64_e32 v[13:14], v[11:12]
	v_fma_f64 v[16:17], -v[11:12], v[13:14], 1.0
	v_fma_f64 v[13:14], v[13:14], v[16:17], v[13:14]
	v_fma_f64 v[16:17], -v[11:12], v[13:14], 1.0
	v_fma_f64 v[13:14], v[13:14], v[16:17], v[13:14]
	v_div_scale_f64 v[16:17], vcc_lo, v[5:6], v[7:8], v[5:6]
	v_mul_f64 v[18:19], v[16:17], v[13:14]
	v_fma_f64 v[11:12], -v[11:12], v[18:19], v[16:17]
	v_div_fmas_f64 v[11:12], v[11:12], v[13:14], v[18:19]
	v_div_fixup_f64 v[11:12], v[11:12], v[7:8], v[5:6]
                                        ; implicit-def: $vgpr7_vgpr8
.LBB2_38:
	s_andn2_saveexec_b32 s0, s3
	s_cbranch_execz .LBB2_40
; %bb.39:
	v_mul_f64 v[5:6], v[7:8], v[7:8]
	s_mov_b32 s12, 0x67f544e4
	s_mov_b32 s14, 0x13a86d09
	;; [unrolled: 1-line block ×4, first 2 shown]
	v_fma_f64 v[7:8], v[5:6], s[14:15], s[12:13]
	s_mov_b32 s12, 0xa556c734
	s_mov_b32 s13, 0x3ec71de3
	v_fma_f64 v[7:8], v[5:6], v[7:8], s[12:13]
	s_mov_b32 s12, 0x1a01a01a
	s_mov_b32 s13, 0xbf2a01a0
	;; [unrolled: 3-line block ×4, first 2 shown]
	v_fma_f64 v[7:8], v[5:6], v[7:8], s[12:13]
	v_fma_f64 v[11:12], v[5:6], v[7:8], 1.0
.LBB2_40:
	s_or_b32 exec_lo, exec_lo, s0
.LBB2_41:
	s_or_b32 exec_lo, exec_lo, s1
	s_add_u32 s4, s8, s4
	s_addc_u32 s5, s9, s5
	s_mov_b32 s0, 0
	global_store_dwordx4 v15, v[1:4], s[4:5]
	global_store_dwordx4 v15, v[9:12], s[4:5] offset:16
.LBB2_42:
	s_and_b32 vcc_lo, exec_lo, s0
	s_cbranch_vccz .LBB2_93
; %bb.43:
	v_mov_b32_e32 v14, 0
	v_mov_b32_e32 v16, 0
	v_cmp_gt_i32_e64 s0, s6, v0
	v_mov_b32_e32 v15, 0
	v_or_b32_e32 v1, s2, v0
	v_or_b32_e32 v18, 0x100, v0
	v_mov_b32_e32 v17, 0
	v_mov_b32_e32 v4, v0
	s_and_saveexec_b32 s1, s0
	s_cbranch_execz .LBB2_45
; %bb.44:
	v_mov_b32_e32 v2, 0
	v_or_b32_e32 v4, 0x100, v0
	v_lshlrev_b64 v[2:3], 3, v[1:2]
	v_add_co_u32 v2, vcc_lo, s10, v2
	v_add_co_ci_u32_e64 v3, null, s11, v3, vcc_lo
	global_load_dwordx2 v[16:17], v[2:3], off
.LBB2_45:
	s_or_b32 exec_lo, exec_lo, s1
	s_mov_b32 s1, exec_lo
	v_cmpx_gt_i32_e64 s6, v4
	s_cbranch_execz .LBB2_47
; %bb.46:
	v_add_nc_u32_e32 v2, s2, v4
	v_mov_b32_e32 v3, 0
	v_add_nc_u32_e32 v4, 0x100, v4
	v_lshlrev_b64 v[2:3], 3, v[2:3]
	v_add_co_u32 v2, vcc_lo, s10, v2
	v_add_co_ci_u32_e64 v3, null, s11, v3, vcc_lo
	global_load_dwordx2 v[14:15], v[2:3], off
.LBB2_47:
	s_or_b32 exec_lo, exec_lo, s1
	v_mov_b32_e32 v2, 0
	v_mov_b32_e32 v6, 0
	;; [unrolled: 1-line block ×4, first 2 shown]
	s_mov_b32 s1, exec_lo
	v_cmpx_gt_i32_e64 s6, v4
	s_cbranch_execz .LBB2_49
; %bb.48:
	v_add_nc_u32_e32 v5, s2, v4
	v_mov_b32_e32 v6, 0
	v_add_nc_u32_e32 v4, 0x100, v4
	v_lshlrev_b64 v[5:6], 3, v[5:6]
	v_add_co_u32 v5, vcc_lo, s10, v5
	v_add_co_ci_u32_e64 v6, null, s11, v6, vcc_lo
	global_load_dwordx2 v[6:7], v[5:6], off
.LBB2_49:
	s_or_b32 exec_lo, exec_lo, s1
	s_mov_b32 s1, exec_lo
	v_cmpx_gt_i32_e64 s6, v4
	s_cbranch_execz .LBB2_51
; %bb.50:
	v_add_nc_u32_e32 v2, s2, v4
	v_mov_b32_e32 v3, 0
	v_lshlrev_b64 v[2:3], 3, v[2:3]
	v_add_co_u32 v2, vcc_lo, s10, v2
	v_add_co_ci_u32_e64 v3, null, s11, v3, vcc_lo
	global_load_dwordx2 v[2:3], v[2:3], off
.LBB2_51:
	s_or_b32 exec_lo, exec_lo, s1
	v_mov_b32_e32 v4, 0
	v_mov_b32_e32 v5, v4
	;; [unrolled: 1-line block ×8, first 2 shown]
	s_and_saveexec_b32 s3, s0
	s_cbranch_execz .LBB2_63
; %bb.52:
	v_mov_b32_e32 v4, 0
	v_mov_b32_e32 v5, 0
	s_mov_b32 s4, exec_lo
	s_waitcnt vmcnt(0)
	v_cmpx_neq_f64_e64 0x7ff00000, |v[16:17]|
	s_cbranch_execz .LBB2_62
; %bb.53:
	s_mov_b32 s5, exec_lo
                                        ; implicit-def: $vgpr4_vgpr5
	v_cmpx_nlt_f64_e64 |v[16:17]|, 0.5
	s_xor_b32 s5, exec_lo, s5
	s_cbranch_execz .LBB2_59
; %bb.54:
	v_cmp_ngt_f64_e64 s1, 0x41d00000, |v[16:17]|
                                        ; implicit-def: $vgpr10
                                        ; implicit-def: $vgpr4_vgpr5
                                        ; implicit-def: $vgpr8_vgpr9
	s_and_saveexec_b32 s7, s1
	s_xor_b32 s1, exec_lo, s7
	s_cbranch_execz .LBB2_56
; %bb.55:
	v_ldexp_f64 v[4:5], |v[16:17]|, 0xffffff80
	v_cmp_le_f64_e64 vcc_lo, 0x7b000000, |v[16:17]|
	v_trig_preop_f64 v[8:9], |v[16:17]|, 0
	v_and_b32_e32 v10, 0x7fffffff, v17
	v_trig_preop_f64 v[25:26], |v[16:17]|, 2
	v_mov_b32_e32 v33, 0
	s_mov_b32 s10, 0x54442d18
	s_mov_b32 s11, 0x3ff921fb
	;; [unrolled: 1-line block ×4, first 2 shown]
	v_cndmask_b32_e32 v5, v10, v5, vcc_lo
	v_cndmask_b32_e32 v4, v16, v4, vcc_lo
	v_trig_preop_f64 v[10:11], |v[16:17]|, 1
	v_mul_f64 v[12:13], v[8:9], v[4:5]
	v_mul_f64 v[31:32], v[25:26], v[4:5]
	;; [unrolled: 1-line block ×3, first 2 shown]
	v_fma_f64 v[8:9], v[8:9], v[4:5], -v[12:13]
	v_fma_f64 v[10:11], v[10:11], v[4:5], -v[19:20]
	;; [unrolled: 1-line block ×3, first 2 shown]
	v_add_f64 v[21:22], v[19:20], v[8:9]
	v_add_f64 v[23:24], v[21:22], -v[19:20]
	v_add_f64 v[29:30], v[12:13], v[21:22]
	v_add_f64 v[27:28], v[21:22], -v[23:24]
	v_add_f64 v[8:9], v[8:9], -v[23:24]
	v_ldexp_f64 v[23:24], v[29:30], -2
	v_add_f64 v[12:13], v[29:30], -v[12:13]
	v_add_f64 v[19:20], v[19:20], -v[27:28]
	v_add_f64 v[27:28], v[31:32], v[10:11]
	v_cmp_neq_f64_e64 vcc_lo, 0x7ff00000, |v[23:24]|
	v_add_f64 v[12:13], v[21:22], -v[12:13]
	v_add_f64 v[8:9], v[8:9], v[19:20]
	v_fract_f64_e32 v[19:20], v[23:24]
	v_add_f64 v[21:22], v[27:28], v[8:9]
	v_ldexp_f64 v[19:20], v[19:20], 2
	v_add_f64 v[23:24], v[12:13], v[21:22]
	v_cndmask_b32_e32 v20, 0, v20, vcc_lo
	v_cndmask_b32_e32 v19, 0, v19, vcc_lo
	v_add_f64 v[29:30], v[23:24], v[19:20]
	v_add_f64 v[12:13], v[23:24], -v[12:13]
	v_cmp_gt_f64_e32 vcc_lo, 0, v[29:30]
	v_add_f64 v[29:30], v[27:28], -v[31:32]
	v_cndmask_b32_e64 v34, 0, 0x40100000, vcc_lo
	v_add_f64 v[38:39], v[27:28], -v[29:30]
	v_add_f64 v[10:11], v[10:11], -v[29:30]
	v_add_f64 v[19:20], v[19:20], v[33:34]
	v_add_f64 v[34:35], v[21:22], -v[27:28]
	v_add_f64 v[29:30], v[31:32], -v[38:39]
	v_add_f64 v[36:37], v[23:24], v[19:20]
	;; [unrolled: 3-line block ×3, first 2 shown]
	v_cvt_i32_f64_e32 v36, v[36:37]
	v_add_f64 v[27:28], v[27:28], -v[40:41]
	v_cvt_f64_i32_e32 v[34:35], v36
	v_add_f64 v[8:9], v[8:9], v[27:28]
	v_add_f64 v[19:20], v[19:20], -v[34:35]
	v_add_f64 v[8:9], v[10:11], v[8:9]
	v_add_f64 v[10:11], v[21:22], -v[12:13]
	v_add_f64 v[25:26], v[23:24], v[19:20]
	v_add_f64 v[4:5], v[4:5], v[8:9]
	v_add_f64 v[8:9], v[25:26], -v[19:20]
	v_cmp_le_f64_e32 vcc_lo, 0.5, v[25:26]
	v_add_f64 v[4:5], v[10:11], v[4:5]
	v_add_f64 v[8:9], v[23:24], -v[8:9]
	v_cndmask_b32_e64 v34, 0, 0x3ff00000, vcc_lo
	v_add_co_ci_u32_e64 v10, null, 0, v36, vcc_lo
	v_add_f64 v[4:5], v[4:5], v[8:9]
	v_add_f64 v[8:9], v[25:26], -v[33:34]
	v_add_f64 v[11:12], v[8:9], v[4:5]
	v_mul_f64 v[19:20], v[11:12], s[10:11]
	v_add_f64 v[8:9], v[11:12], -v[8:9]
	v_fma_f64 v[21:22], v[11:12], s[10:11], -v[19:20]
	v_add_f64 v[4:5], v[4:5], -v[8:9]
	v_fma_f64 v[8:9], v[11:12], s[12:13], v[21:22]
	v_fma_f64 v[8:9], v[4:5], s[10:11], v[8:9]
	v_add_f64 v[4:5], v[19:20], v[8:9]
	v_add_f64 v[11:12], v[4:5], -v[19:20]
	v_add_f64 v[8:9], v[8:9], -v[11:12]
.LBB2_56:
	s_andn2_saveexec_b32 s1, s1
	s_cbranch_execz .LBB2_58
; %bb.57:
	s_mov_b32 s10, 0x6dc9c883
	s_mov_b32 s11, 0x3fe45f30
	s_mov_b32 s13, 0xbc91a626
	v_mul_f64 v[4:5], |v[16:17]|, s[10:11]
	s_mov_b32 s10, 0x54442d18
	s_mov_b32 s11, 0xbff921fb
	;; [unrolled: 1-line block ×3, first 2 shown]
	v_rndne_f64_e32 v[10:11], v[4:5]
	v_fma_f64 v[4:5], v[10:11], s[10:11], |v[16:17]|
	v_mul_f64 v[8:9], v[10:11], s[12:13]
	s_mov_b32 s10, 0x252049c0
	s_mov_b32 s11, 0xb97b839a
	v_fma_f64 v[19:20], v[10:11], s[12:13], v[4:5]
	v_add_f64 v[12:13], v[4:5], v[8:9]
	s_mov_b32 s13, 0x3c91a626
	v_add_f64 v[4:5], v[4:5], -v[12:13]
	v_add_f64 v[12:13], v[12:13], -v[19:20]
	v_add_f64 v[4:5], v[4:5], v[8:9]
	v_fma_f64 v[8:9], v[10:11], s[12:13], v[8:9]
	v_add_f64 v[4:5], v[12:13], v[4:5]
	v_add_f64 v[4:5], v[4:5], -v[8:9]
	v_fma_f64 v[8:9], v[10:11], s[10:11], v[4:5]
	v_cvt_i32_f64_e32 v10, v[10:11]
	v_add_f64 v[4:5], v[19:20], v[8:9]
	v_add_f64 v[12:13], v[4:5], -v[19:20]
	v_add_f64 v[8:9], v[8:9], -v[12:13]
.LBB2_58:
	s_or_b32 exec_lo, exec_lo, s1
	v_mul_f64 v[11:12], v[4:5], v[4:5]
	s_mov_b32 s10, 0xb42fdfa7
	s_mov_b32 s12, 0xf9a43bb8
	;; [unrolled: 1-line block ×6, first 2 shown]
	v_mul_f64 v[27:28], v[8:9], 0.5
	v_cmp_class_f64_e64 s1, v[16:17], 0x1f8
	v_fma_f64 v[19:20], v[11:12], s[12:13], s[10:11]
	s_mov_b32 s10, 0x9037ab78
	s_mov_b32 s12, 0x46cc5e42
	;; [unrolled: 1-line block ×4, first 2 shown]
	v_mul_f64 v[23:24], v[11:12], 0.5
	v_fma_f64 v[21:22], v[11:12], s[12:13], s[10:11]
	s_mov_b32 s10, 0xa17f65f6
	s_mov_b32 s12, 0x19e83e5c
	;; [unrolled: 1-line block ×4, first 2 shown]
	v_mul_f64 v[29:30], v[4:5], -v[11:12]
	v_fma_f64 v[19:20], v[11:12], v[19:20], s[14:15]
	v_add_f64 v[25:26], -v[23:24], 1.0
	v_fma_f64 v[21:22], v[11:12], v[21:22], s[10:11]
	s_mov_b32 s10, 0x19f4ec90
	s_mov_b32 s11, 0x3efa01a0
	v_fma_f64 v[19:20], v[11:12], v[19:20], s[12:13]
	s_mov_b32 s12, 0x11110bb3
	s_mov_b32 s13, 0x3f811111
	v_add_f64 v[31:32], -v[25:26], 1.0
	v_fma_f64 v[21:22], v[11:12], v[21:22], s[10:11]
	s_mov_b32 s10, 0x16c16967
	s_mov_b32 s11, 0xbf56c16c
	v_fma_f64 v[19:20], v[11:12], v[19:20], s[12:13]
	v_add_f64 v[23:24], v[31:32], -v[23:24]
	v_fma_f64 v[21:22], v[11:12], v[21:22], s[10:11]
	s_mov_b32 s11, 0x3fa55555
	s_mov_b32 s10, 0x55555555
	v_fma_f64 v[19:20], v[29:30], v[19:20], v[27:28]
	v_mul_f64 v[27:28], v[11:12], v[11:12]
	v_fma_f64 v[23:24], v[4:5], -v[8:9], v[23:24]
	v_fma_f64 v[21:22], v[11:12], v[21:22], s[10:11]
	s_mov_b32 s11, 0xbfc55555
	v_fma_f64 v[8:9], v[11:12], v[19:20], -v[8:9]
	v_fma_f64 v[11:12], v[27:28], v[21:22], v[23:24]
	v_fma_f64 v[8:9], v[29:30], s[10:11], v[8:9]
	v_add_f64 v[11:12], v[25:26], v[11:12]
	v_add_f64 v[4:5], v[4:5], -v[8:9]
	v_and_b32_e32 v8, 1, v10
	v_cmp_eq_u32_e32 vcc_lo, 0, v8
	v_lshlrev_b32_e32 v8, 30, v10
	v_xor_b32_e32 v8, v8, v17
	v_and_b32_e32 v8, 0x80000000, v8
	v_cndmask_b32_e32 v5, v12, v5, vcc_lo
	v_cndmask_b32_e32 v4, v11, v4, vcc_lo
	v_xor_b32_e32 v5, v5, v8
	v_cndmask_b32_e64 v4, 0, v4, s1
	v_cndmask_b32_e64 v5, 0x7ff80000, v5, s1
	v_div_scale_f64 v[8:9], null, v[16:17], v[16:17], v[4:5]
	v_rcp_f64_e32 v[10:11], v[8:9]
	v_fma_f64 v[12:13], -v[8:9], v[10:11], 1.0
	v_fma_f64 v[10:11], v[10:11], v[12:13], v[10:11]
	v_fma_f64 v[12:13], -v[8:9], v[10:11], 1.0
	v_fma_f64 v[10:11], v[10:11], v[12:13], v[10:11]
	v_div_scale_f64 v[12:13], vcc_lo, v[4:5], v[16:17], v[4:5]
	v_mul_f64 v[19:20], v[12:13], v[10:11]
	v_fma_f64 v[8:9], -v[8:9], v[19:20], v[12:13]
	v_div_fmas_f64 v[8:9], v[8:9], v[10:11], v[19:20]
	v_div_fixup_f64 v[4:5], v[8:9], v[16:17], v[4:5]
                                        ; implicit-def: $vgpr16_vgpr17
.LBB2_59:
	s_andn2_saveexec_b32 s1, s5
	s_cbranch_execz .LBB2_61
; %bb.60:
	v_mul_f64 v[4:5], v[16:17], v[16:17]
	s_mov_b32 s10, 0x67f544e4
	s_mov_b32 s12, 0x13a86d09
	;; [unrolled: 1-line block ×4, first 2 shown]
	v_fma_f64 v[8:9], v[4:5], s[12:13], s[10:11]
	s_mov_b32 s10, 0xa556c734
	s_mov_b32 s11, 0x3ec71de3
	v_fma_f64 v[8:9], v[4:5], v[8:9], s[10:11]
	s_mov_b32 s10, 0x1a01a01a
	s_mov_b32 s11, 0xbf2a01a0
	;; [unrolled: 3-line block ×4, first 2 shown]
	v_fma_f64 v[8:9], v[4:5], v[8:9], s[10:11]
	v_fma_f64 v[4:5], v[4:5], v[8:9], 1.0
.LBB2_61:
	s_or_b32 exec_lo, exec_lo, s1
.LBB2_62:
	s_or_b32 exec_lo, exec_lo, s4
	v_mov_b32_e32 v12, 0
	v_mov_b32_e32 v13, v12
	v_mov_b32_e32 v10, v12
	v_mov_b32_e32 v11, v12
	v_mov_b32_e32 v8, v12
	v_mov_b32_e32 v9, v12
.LBB2_63:
	s_or_b32 exec_lo, exec_lo, s3
	s_mov_b32 s3, exec_lo
	v_cmpx_gt_i32_e64 s6, v18
	s_cbranch_execz .LBB2_75
; %bb.64:
	v_mov_b32_e32 v12, 0
	v_mov_b32_e32 v13, 0
	s_mov_b32 s4, exec_lo
	s_waitcnt vmcnt(0)
	v_cmpx_neq_f64_e64 0x7ff00000, |v[14:15]|
	s_cbranch_execz .LBB2_74
; %bb.65:
	s_mov_b32 s5, exec_lo
	v_cmpx_nlt_f64_e64 |v[14:15]|, 0.5
	s_xor_b32 s5, exec_lo, s5
                                        ; implicit-def: $vgpr12_vgpr13
	s_cbranch_execz .LBB2_71
; %bb.66:
	v_cmp_ngt_f64_e64 s1, 0x41d00000, |v[14:15]|
                                        ; implicit-def: $vgpr19
                                        ; implicit-def: $vgpr12_vgpr13
                                        ; implicit-def: $vgpr16_vgpr17
	s_and_saveexec_b32 s7, s1
	s_xor_b32 s1, exec_lo, s7
	s_cbranch_execz .LBB2_68
; %bb.67:
	v_ldexp_f64 v[12:13], |v[14:15]|, 0xffffff80
	v_cmp_le_f64_e64 vcc_lo, 0x7b000000, |v[14:15]|
	v_trig_preop_f64 v[16:17], |v[14:15]|, 0
	v_and_b32_e32 v19, 0x7fffffff, v15
	v_trig_preop_f64 v[29:30], |v[14:15]|, 2
	v_mov_b32_e32 v37, 0
	s_mov_b32 s10, 0x54442d18
	s_mov_b32 s11, 0x3ff921fb
	s_mov_b32 s12, 0x33145c07
	s_mov_b32 s13, 0x3c91a626
	v_cndmask_b32_e32 v13, v19, v13, vcc_lo
	v_cndmask_b32_e32 v12, v14, v12, vcc_lo
	v_trig_preop_f64 v[19:20], |v[14:15]|, 1
	v_mul_f64 v[21:22], v[16:17], v[12:13]
	v_mul_f64 v[35:36], v[29:30], v[12:13]
	;; [unrolled: 1-line block ×3, first 2 shown]
	v_fma_f64 v[16:17], v[16:17], v[12:13], -v[21:22]
	v_fma_f64 v[19:20], v[19:20], v[12:13], -v[23:24]
	;; [unrolled: 1-line block ×3, first 2 shown]
	v_add_f64 v[25:26], v[23:24], v[16:17]
	v_add_f64 v[27:28], v[25:26], -v[23:24]
	v_add_f64 v[33:34], v[21:22], v[25:26]
	v_add_f64 v[31:32], v[25:26], -v[27:28]
	v_add_f64 v[16:17], v[16:17], -v[27:28]
	v_ldexp_f64 v[27:28], v[33:34], -2
	v_add_f64 v[21:22], v[33:34], -v[21:22]
	v_add_f64 v[23:24], v[23:24], -v[31:32]
	v_add_f64 v[31:32], v[35:36], v[19:20]
	v_cmp_neq_f64_e64 vcc_lo, 0x7ff00000, |v[27:28]|
	v_add_f64 v[21:22], v[25:26], -v[21:22]
	v_add_f64 v[16:17], v[16:17], v[23:24]
	v_fract_f64_e32 v[23:24], v[27:28]
	v_add_f64 v[25:26], v[31:32], v[16:17]
	v_ldexp_f64 v[23:24], v[23:24], 2
	v_add_f64 v[27:28], v[21:22], v[25:26]
	v_cndmask_b32_e32 v24, 0, v24, vcc_lo
	v_cndmask_b32_e32 v23, 0, v23, vcc_lo
	v_add_f64 v[33:34], v[27:28], v[23:24]
	v_add_f64 v[21:22], v[27:28], -v[21:22]
	v_cmp_gt_f64_e32 vcc_lo, 0, v[33:34]
	v_add_f64 v[33:34], v[31:32], -v[35:36]
	v_cndmask_b32_e64 v38, 0, 0x40100000, vcc_lo
	v_add_f64 v[42:43], v[31:32], -v[33:34]
	v_add_f64 v[19:20], v[19:20], -v[33:34]
	v_add_f64 v[23:24], v[23:24], v[37:38]
	v_add_f64 v[38:39], v[25:26], -v[31:32]
	v_add_f64 v[33:34], v[35:36], -v[42:43]
	v_add_f64 v[40:41], v[27:28], v[23:24]
	;; [unrolled: 3-line block ×3, first 2 shown]
	v_cvt_i32_f64_e32 v40, v[40:41]
	v_add_f64 v[31:32], v[31:32], -v[44:45]
	v_cvt_f64_i32_e32 v[38:39], v40
	v_add_f64 v[16:17], v[16:17], v[31:32]
	v_add_f64 v[23:24], v[23:24], -v[38:39]
	v_add_f64 v[16:17], v[19:20], v[16:17]
	v_add_f64 v[19:20], v[25:26], -v[21:22]
	v_add_f64 v[29:30], v[27:28], v[23:24]
	v_add_f64 v[12:13], v[12:13], v[16:17]
	v_add_f64 v[16:17], v[29:30], -v[23:24]
	v_cmp_le_f64_e32 vcc_lo, 0.5, v[29:30]
	v_add_f64 v[12:13], v[19:20], v[12:13]
	v_add_f64 v[16:17], v[27:28], -v[16:17]
	v_cndmask_b32_e64 v38, 0, 0x3ff00000, vcc_lo
	v_add_co_ci_u32_e64 v19, null, 0, v40, vcc_lo
	v_add_f64 v[12:13], v[12:13], v[16:17]
	v_add_f64 v[16:17], v[29:30], -v[37:38]
	v_add_f64 v[20:21], v[16:17], v[12:13]
	v_mul_f64 v[22:23], v[20:21], s[10:11]
	v_add_f64 v[16:17], v[20:21], -v[16:17]
	v_fma_f64 v[24:25], v[20:21], s[10:11], -v[22:23]
	v_add_f64 v[12:13], v[12:13], -v[16:17]
	v_fma_f64 v[16:17], v[20:21], s[12:13], v[24:25]
	v_fma_f64 v[16:17], v[12:13], s[10:11], v[16:17]
	v_add_f64 v[12:13], v[22:23], v[16:17]
	v_add_f64 v[20:21], v[12:13], -v[22:23]
	v_add_f64 v[16:17], v[16:17], -v[20:21]
.LBB2_68:
	s_andn2_saveexec_b32 s1, s1
	s_cbranch_execz .LBB2_70
; %bb.69:
	s_mov_b32 s10, 0x6dc9c883
	s_mov_b32 s11, 0x3fe45f30
	;; [unrolled: 1-line block ×3, first 2 shown]
	v_mul_f64 v[12:13], |v[14:15]|, s[10:11]
	s_mov_b32 s10, 0x54442d18
	s_mov_b32 s11, 0xbff921fb
	;; [unrolled: 1-line block ×3, first 2 shown]
	v_rndne_f64_e32 v[19:20], v[12:13]
	v_fma_f64 v[12:13], v[19:20], s[10:11], |v[14:15]|
	v_mul_f64 v[16:17], v[19:20], s[12:13]
	s_mov_b32 s10, 0x252049c0
	s_mov_b32 s11, 0xb97b839a
	v_fma_f64 v[23:24], v[19:20], s[12:13], v[12:13]
	v_add_f64 v[21:22], v[12:13], v[16:17]
	s_mov_b32 s13, 0x3c91a626
	v_add_f64 v[12:13], v[12:13], -v[21:22]
	v_add_f64 v[21:22], v[21:22], -v[23:24]
	v_add_f64 v[12:13], v[12:13], v[16:17]
	v_fma_f64 v[16:17], v[19:20], s[12:13], v[16:17]
	v_add_f64 v[12:13], v[21:22], v[12:13]
	v_add_f64 v[12:13], v[12:13], -v[16:17]
	v_fma_f64 v[16:17], v[19:20], s[10:11], v[12:13]
	v_cvt_i32_f64_e32 v19, v[19:20]
	v_add_f64 v[12:13], v[23:24], v[16:17]
	v_add_f64 v[21:22], v[12:13], -v[23:24]
	v_add_f64 v[16:17], v[16:17], -v[21:22]
.LBB2_70:
	s_or_b32 exec_lo, exec_lo, s1
	v_mul_f64 v[20:21], v[12:13], v[12:13]
	s_mov_b32 s10, 0xb42fdfa7
	s_mov_b32 s12, 0xf9a43bb8
	;; [unrolled: 1-line block ×6, first 2 shown]
	v_mul_f64 v[30:31], v[16:17], 0.5
	v_cmp_class_f64_e64 s1, v[14:15], 0x1f8
	v_fma_f64 v[22:23], v[20:21], s[12:13], s[10:11]
	s_mov_b32 s10, 0x9037ab78
	s_mov_b32 s12, 0x46cc5e42
	;; [unrolled: 1-line block ×4, first 2 shown]
	v_mul_f64 v[26:27], v[20:21], 0.5
	v_fma_f64 v[24:25], v[20:21], s[12:13], s[10:11]
	s_mov_b32 s10, 0xa17f65f6
	s_mov_b32 s12, 0x19e83e5c
	;; [unrolled: 1-line block ×4, first 2 shown]
	v_mul_f64 v[32:33], v[12:13], -v[20:21]
	v_fma_f64 v[22:23], v[20:21], v[22:23], s[14:15]
	v_add_f64 v[28:29], -v[26:27], 1.0
	v_fma_f64 v[24:25], v[20:21], v[24:25], s[10:11]
	s_mov_b32 s10, 0x19f4ec90
	s_mov_b32 s11, 0x3efa01a0
	v_fma_f64 v[22:23], v[20:21], v[22:23], s[12:13]
	s_mov_b32 s12, 0x11110bb3
	s_mov_b32 s13, 0x3f811111
	v_add_f64 v[34:35], -v[28:29], 1.0
	v_fma_f64 v[24:25], v[20:21], v[24:25], s[10:11]
	s_mov_b32 s10, 0x16c16967
	s_mov_b32 s11, 0xbf56c16c
	v_fma_f64 v[22:23], v[20:21], v[22:23], s[12:13]
	v_add_f64 v[26:27], v[34:35], -v[26:27]
	v_fma_f64 v[24:25], v[20:21], v[24:25], s[10:11]
	s_mov_b32 s11, 0x3fa55555
	s_mov_b32 s10, 0x55555555
	v_fma_f64 v[22:23], v[32:33], v[22:23], v[30:31]
	v_mul_f64 v[30:31], v[20:21], v[20:21]
	v_fma_f64 v[26:27], v[12:13], -v[16:17], v[26:27]
	v_fma_f64 v[24:25], v[20:21], v[24:25], s[10:11]
	s_mov_b32 s11, 0xbfc55555
	v_fma_f64 v[16:17], v[20:21], v[22:23], -v[16:17]
	v_fma_f64 v[20:21], v[30:31], v[24:25], v[26:27]
	v_fma_f64 v[16:17], v[32:33], s[10:11], v[16:17]
	v_add_f64 v[20:21], v[28:29], v[20:21]
	v_add_f64 v[12:13], v[12:13], -v[16:17]
	v_and_b32_e32 v16, 1, v19
	v_cmp_eq_u32_e32 vcc_lo, 0, v16
	v_lshlrev_b32_e32 v16, 30, v19
	v_xor_b32_e32 v16, v16, v15
	v_and_b32_e32 v16, 0x80000000, v16
	v_cndmask_b32_e32 v13, v21, v13, vcc_lo
	v_cndmask_b32_e32 v12, v20, v12, vcc_lo
	v_xor_b32_e32 v13, v13, v16
	v_cndmask_b32_e64 v12, 0, v12, s1
	v_cndmask_b32_e64 v13, 0x7ff80000, v13, s1
	v_div_scale_f64 v[16:17], null, v[14:15], v[14:15], v[12:13]
	v_rcp_f64_e32 v[19:20], v[16:17]
	v_fma_f64 v[21:22], -v[16:17], v[19:20], 1.0
	v_fma_f64 v[19:20], v[19:20], v[21:22], v[19:20]
	v_fma_f64 v[21:22], -v[16:17], v[19:20], 1.0
	v_fma_f64 v[19:20], v[19:20], v[21:22], v[19:20]
	v_div_scale_f64 v[21:22], vcc_lo, v[12:13], v[14:15], v[12:13]
	v_mul_f64 v[23:24], v[21:22], v[19:20]
	v_fma_f64 v[16:17], -v[16:17], v[23:24], v[21:22]
	v_div_fmas_f64 v[16:17], v[16:17], v[19:20], v[23:24]
	v_div_fixup_f64 v[12:13], v[16:17], v[14:15], v[12:13]
                                        ; implicit-def: $vgpr14_vgpr15
.LBB2_71:
	s_andn2_saveexec_b32 s1, s5
	s_cbranch_execz .LBB2_73
; %bb.72:
	v_mul_f64 v[12:13], v[14:15], v[14:15]
	s_mov_b32 s10, 0x67f544e4
	s_mov_b32 s12, 0x13a86d09
	s_mov_b32 s11, 0xbe5ae645
	s_mov_b32 s13, 0x3de61246
	v_fma_f64 v[14:15], v[12:13], s[12:13], s[10:11]
	s_mov_b32 s10, 0xa556c734
	s_mov_b32 s11, 0x3ec71de3
	v_fma_f64 v[14:15], v[12:13], v[14:15], s[10:11]
	s_mov_b32 s10, 0x1a01a01a
	s_mov_b32 s11, 0xbf2a01a0
	;; [unrolled: 3-line block ×4, first 2 shown]
	v_fma_f64 v[14:15], v[12:13], v[14:15], s[10:11]
	v_fma_f64 v[12:13], v[12:13], v[14:15], 1.0
.LBB2_73:
	s_or_b32 exec_lo, exec_lo, s1
.LBB2_74:
	s_or_b32 exec_lo, exec_lo, s4
.LBB2_75:
	s_or_b32 exec_lo, exec_lo, s3
	s_waitcnt vmcnt(0)
	v_or_b32_e32 v14, 0x200, v0
	s_mov_b32 s3, exec_lo
	v_cmpx_gt_i32_e64 s6, v14
	s_cbranch_execz .LBB2_87
; %bb.76:
	v_mov_b32_e32 v10, 0
	v_mov_b32_e32 v11, 0
	s_mov_b32 s4, exec_lo
	v_cmpx_neq_f64_e64 0x7ff00000, |v[6:7]|
	s_cbranch_execz .LBB2_86
; %bb.77:
	s_mov_b32 s5, exec_lo
	v_cmpx_nlt_f64_e64 |v[6:7]|, 0.5
	s_xor_b32 s5, exec_lo, s5
                                        ; implicit-def: $vgpr10_vgpr11
	s_cbranch_execz .LBB2_83
; %bb.78:
	v_cmp_ngt_f64_e64 s1, 0x41d00000, |v[6:7]|
                                        ; implicit-def: $vgpr16
                                        ; implicit-def: $vgpr10_vgpr11
                                        ; implicit-def: $vgpr14_vgpr15
	s_and_saveexec_b32 s7, s1
	s_xor_b32 s1, exec_lo, s7
	s_cbranch_execz .LBB2_80
; %bb.79:
	v_ldexp_f64 v[10:11], |v[6:7]|, 0xffffff80
	v_cmp_le_f64_e64 vcc_lo, 0x7b000000, |v[6:7]|
	v_trig_preop_f64 v[14:15], |v[6:7]|, 0
	v_and_b32_e32 v16, 0x7fffffff, v7
	v_trig_preop_f64 v[27:28], |v[6:7]|, 2
	v_mov_b32_e32 v35, 0
	s_mov_b32 s10, 0x54442d18
	s_mov_b32 s11, 0x3ff921fb
	;; [unrolled: 1-line block ×4, first 2 shown]
	v_cndmask_b32_e32 v11, v16, v11, vcc_lo
	v_cndmask_b32_e32 v10, v6, v10, vcc_lo
	v_trig_preop_f64 v[16:17], |v[6:7]|, 1
	v_mul_f64 v[19:20], v[14:15], v[10:11]
	v_mul_f64 v[33:34], v[27:28], v[10:11]
	;; [unrolled: 1-line block ×3, first 2 shown]
	v_fma_f64 v[14:15], v[14:15], v[10:11], -v[19:20]
	v_fma_f64 v[16:17], v[16:17], v[10:11], -v[21:22]
	;; [unrolled: 1-line block ×3, first 2 shown]
	v_add_f64 v[23:24], v[21:22], v[14:15]
	v_add_f64 v[25:26], v[23:24], -v[21:22]
	v_add_f64 v[31:32], v[19:20], v[23:24]
	v_add_f64 v[29:30], v[23:24], -v[25:26]
	v_add_f64 v[14:15], v[14:15], -v[25:26]
	v_ldexp_f64 v[25:26], v[31:32], -2
	v_add_f64 v[19:20], v[31:32], -v[19:20]
	v_add_f64 v[21:22], v[21:22], -v[29:30]
	v_add_f64 v[29:30], v[33:34], v[16:17]
	v_cmp_neq_f64_e64 vcc_lo, 0x7ff00000, |v[25:26]|
	v_add_f64 v[19:20], v[23:24], -v[19:20]
	v_add_f64 v[14:15], v[14:15], v[21:22]
	v_fract_f64_e32 v[21:22], v[25:26]
	v_add_f64 v[23:24], v[29:30], v[14:15]
	v_ldexp_f64 v[21:22], v[21:22], 2
	v_add_f64 v[25:26], v[19:20], v[23:24]
	v_cndmask_b32_e32 v22, 0, v22, vcc_lo
	v_cndmask_b32_e32 v21, 0, v21, vcc_lo
	v_add_f64 v[31:32], v[25:26], v[21:22]
	v_add_f64 v[19:20], v[25:26], -v[19:20]
	v_cmp_gt_f64_e32 vcc_lo, 0, v[31:32]
	v_add_f64 v[31:32], v[29:30], -v[33:34]
	v_cndmask_b32_e64 v36, 0, 0x40100000, vcc_lo
	v_add_f64 v[40:41], v[29:30], -v[31:32]
	v_add_f64 v[16:17], v[16:17], -v[31:32]
	v_add_f64 v[21:22], v[21:22], v[35:36]
	v_add_f64 v[36:37], v[23:24], -v[29:30]
	v_add_f64 v[31:32], v[33:34], -v[40:41]
	v_add_f64 v[38:39], v[25:26], v[21:22]
	;; [unrolled: 3-line block ×3, first 2 shown]
	v_cvt_i32_f64_e32 v38, v[38:39]
	v_add_f64 v[29:30], v[29:30], -v[42:43]
	v_cvt_f64_i32_e32 v[36:37], v38
	v_add_f64 v[14:15], v[14:15], v[29:30]
	v_add_f64 v[21:22], v[21:22], -v[36:37]
	v_add_f64 v[14:15], v[16:17], v[14:15]
	v_add_f64 v[16:17], v[23:24], -v[19:20]
	v_add_f64 v[27:28], v[25:26], v[21:22]
	v_add_f64 v[10:11], v[10:11], v[14:15]
	v_add_f64 v[14:15], v[27:28], -v[21:22]
	v_cmp_le_f64_e32 vcc_lo, 0.5, v[27:28]
	v_add_f64 v[10:11], v[16:17], v[10:11]
	v_add_f64 v[14:15], v[25:26], -v[14:15]
	v_cndmask_b32_e64 v36, 0, 0x3ff00000, vcc_lo
	v_add_co_ci_u32_e64 v16, null, 0, v38, vcc_lo
	v_add_f64 v[10:11], v[10:11], v[14:15]
	v_add_f64 v[14:15], v[27:28], -v[35:36]
	v_add_f64 v[19:20], v[14:15], v[10:11]
	v_mul_f64 v[21:22], v[19:20], s[10:11]
	v_add_f64 v[14:15], v[19:20], -v[14:15]
	v_fma_f64 v[23:24], v[19:20], s[10:11], -v[21:22]
	v_add_f64 v[10:11], v[10:11], -v[14:15]
	v_fma_f64 v[14:15], v[19:20], s[12:13], v[23:24]
	v_fma_f64 v[14:15], v[10:11], s[10:11], v[14:15]
	v_add_f64 v[10:11], v[21:22], v[14:15]
	v_add_f64 v[19:20], v[10:11], -v[21:22]
	v_add_f64 v[14:15], v[14:15], -v[19:20]
.LBB2_80:
	s_andn2_saveexec_b32 s1, s1
	s_cbranch_execz .LBB2_82
; %bb.81:
	s_mov_b32 s10, 0x6dc9c883
	s_mov_b32 s11, 0x3fe45f30
	;; [unrolled: 1-line block ×3, first 2 shown]
	v_mul_f64 v[10:11], |v[6:7]|, s[10:11]
	s_mov_b32 s10, 0x54442d18
	s_mov_b32 s11, 0xbff921fb
	;; [unrolled: 1-line block ×3, first 2 shown]
	v_rndne_f64_e32 v[16:17], v[10:11]
	v_fma_f64 v[10:11], v[16:17], s[10:11], |v[6:7]|
	v_mul_f64 v[14:15], v[16:17], s[12:13]
	s_mov_b32 s10, 0x252049c0
	s_mov_b32 s11, 0xb97b839a
	v_fma_f64 v[21:22], v[16:17], s[12:13], v[10:11]
	v_add_f64 v[19:20], v[10:11], v[14:15]
	s_mov_b32 s13, 0x3c91a626
	v_add_f64 v[10:11], v[10:11], -v[19:20]
	v_add_f64 v[19:20], v[19:20], -v[21:22]
	v_add_f64 v[10:11], v[10:11], v[14:15]
	v_fma_f64 v[14:15], v[16:17], s[12:13], v[14:15]
	v_add_f64 v[10:11], v[19:20], v[10:11]
	v_add_f64 v[10:11], v[10:11], -v[14:15]
	v_fma_f64 v[14:15], v[16:17], s[10:11], v[10:11]
	v_cvt_i32_f64_e32 v16, v[16:17]
	v_add_f64 v[10:11], v[21:22], v[14:15]
	v_add_f64 v[19:20], v[10:11], -v[21:22]
	v_add_f64 v[14:15], v[14:15], -v[19:20]
.LBB2_82:
	s_or_b32 exec_lo, exec_lo, s1
	v_mul_f64 v[19:20], v[10:11], v[10:11]
	s_mov_b32 s10, 0xb42fdfa7
	s_mov_b32 s12, 0xf9a43bb8
	;; [unrolled: 1-line block ×6, first 2 shown]
	v_mul_f64 v[29:30], v[14:15], 0.5
	v_cmp_class_f64_e64 s1, v[6:7], 0x1f8
	v_fma_f64 v[21:22], v[19:20], s[12:13], s[10:11]
	s_mov_b32 s10, 0x9037ab78
	s_mov_b32 s12, 0x46cc5e42
	;; [unrolled: 1-line block ×4, first 2 shown]
	v_mul_f64 v[25:26], v[19:20], 0.5
	v_fma_f64 v[23:24], v[19:20], s[12:13], s[10:11]
	s_mov_b32 s10, 0xa17f65f6
	s_mov_b32 s12, 0x19e83e5c
	s_mov_b32 s11, 0xbe927e4f
	s_mov_b32 s13, 0xbf2a01a0
	v_mul_f64 v[31:32], v[10:11], -v[19:20]
	v_fma_f64 v[21:22], v[19:20], v[21:22], s[14:15]
	v_add_f64 v[27:28], -v[25:26], 1.0
	v_fma_f64 v[23:24], v[19:20], v[23:24], s[10:11]
	s_mov_b32 s10, 0x19f4ec90
	s_mov_b32 s11, 0x3efa01a0
	v_fma_f64 v[21:22], v[19:20], v[21:22], s[12:13]
	s_mov_b32 s12, 0x11110bb3
	s_mov_b32 s13, 0x3f811111
	v_add_f64 v[33:34], -v[27:28], 1.0
	v_fma_f64 v[23:24], v[19:20], v[23:24], s[10:11]
	s_mov_b32 s10, 0x16c16967
	s_mov_b32 s11, 0xbf56c16c
	v_fma_f64 v[21:22], v[19:20], v[21:22], s[12:13]
	v_add_f64 v[25:26], v[33:34], -v[25:26]
	v_fma_f64 v[23:24], v[19:20], v[23:24], s[10:11]
	s_mov_b32 s11, 0x3fa55555
	s_mov_b32 s10, 0x55555555
	v_fma_f64 v[21:22], v[31:32], v[21:22], v[29:30]
	v_mul_f64 v[29:30], v[19:20], v[19:20]
	v_fma_f64 v[25:26], v[10:11], -v[14:15], v[25:26]
	v_fma_f64 v[23:24], v[19:20], v[23:24], s[10:11]
	s_mov_b32 s11, 0xbfc55555
	v_fma_f64 v[14:15], v[19:20], v[21:22], -v[14:15]
	v_fma_f64 v[19:20], v[29:30], v[23:24], v[25:26]
	v_fma_f64 v[14:15], v[31:32], s[10:11], v[14:15]
	v_add_f64 v[19:20], v[27:28], v[19:20]
	v_add_f64 v[10:11], v[10:11], -v[14:15]
	v_and_b32_e32 v14, 1, v16
	v_cmp_eq_u32_e32 vcc_lo, 0, v14
	v_lshlrev_b32_e32 v14, 30, v16
	v_xor_b32_e32 v14, v14, v7
	v_and_b32_e32 v14, 0x80000000, v14
	v_cndmask_b32_e32 v11, v20, v11, vcc_lo
	v_cndmask_b32_e32 v10, v19, v10, vcc_lo
	v_xor_b32_e32 v11, v11, v14
	v_cndmask_b32_e64 v10, 0, v10, s1
	v_cndmask_b32_e64 v11, 0x7ff80000, v11, s1
	v_div_scale_f64 v[14:15], null, v[6:7], v[6:7], v[10:11]
	v_rcp_f64_e32 v[16:17], v[14:15]
	v_fma_f64 v[19:20], -v[14:15], v[16:17], 1.0
	v_fma_f64 v[16:17], v[16:17], v[19:20], v[16:17]
	v_fma_f64 v[19:20], -v[14:15], v[16:17], 1.0
	v_fma_f64 v[16:17], v[16:17], v[19:20], v[16:17]
	v_div_scale_f64 v[19:20], vcc_lo, v[10:11], v[6:7], v[10:11]
	v_mul_f64 v[21:22], v[19:20], v[16:17]
	v_fma_f64 v[14:15], -v[14:15], v[21:22], v[19:20]
	v_div_fmas_f64 v[14:15], v[14:15], v[16:17], v[21:22]
	v_div_fixup_f64 v[10:11], v[14:15], v[6:7], v[10:11]
                                        ; implicit-def: $vgpr6_vgpr7
.LBB2_83:
	s_andn2_saveexec_b32 s1, s5
	s_cbranch_execz .LBB2_85
; %bb.84:
	v_mul_f64 v[6:7], v[6:7], v[6:7]
	s_mov_b32 s10, 0x67f544e4
	s_mov_b32 s12, 0x13a86d09
	;; [unrolled: 1-line block ×4, first 2 shown]
	v_fma_f64 v[10:11], v[6:7], s[12:13], s[10:11]
	s_mov_b32 s10, 0xa556c734
	s_mov_b32 s11, 0x3ec71de3
	v_fma_f64 v[10:11], v[6:7], v[10:11], s[10:11]
	s_mov_b32 s10, 0x1a01a01a
	s_mov_b32 s11, 0xbf2a01a0
	;; [unrolled: 3-line block ×4, first 2 shown]
	v_fma_f64 v[10:11], v[6:7], v[10:11], s[10:11]
	v_fma_f64 v[10:11], v[6:7], v[10:11], 1.0
.LBB2_85:
	s_or_b32 exec_lo, exec_lo, s1
.LBB2_86:
	s_or_b32 exec_lo, exec_lo, s4
.LBB2_87:
	s_or_b32 exec_lo, exec_lo, s3
	v_or_b32_e32 v6, 0x300, v0
	s_mov_b32 s3, exec_lo
	v_cmpx_gt_i32_e64 s6, v6
	s_cbranch_execnz .LBB2_94
; %bb.88:
	s_or_b32 exec_lo, exec_lo, s3
	s_and_saveexec_b32 s1, s0
	s_xor_b32 s0, exec_lo, s1
	s_cbranch_execnz .LBB2_105
.LBB2_89:
	s_or_b32 exec_lo, exec_lo, s0
	s_mov_b32 s0, exec_lo
	v_cmpx_gt_i32_e64 s6, v0
	s_cbranch_execnz .LBB2_106
.LBB2_90:
	s_or_b32 exec_lo, exec_lo, s0
	s_mov_b32 s0, exec_lo
	v_cmpx_gt_i32_e64 s6, v0
	s_cbranch_execnz .LBB2_107
.LBB2_91:
	s_or_b32 exec_lo, exec_lo, s0
	s_mov_b32 s0, exec_lo
	v_cmpx_gt_i32_e64 s6, v0
	s_cbranch_execz .LBB2_93
.LBB2_92:
	v_add_nc_u32_e32 v0, s2, v0
	v_mov_b32_e32 v1, 0
	v_lshlrev_b64 v[0:1], 3, v[0:1]
	v_add_co_u32 v0, vcc_lo, s8, v0
	v_add_co_ci_u32_e64 v1, null, s9, v1, vcc_lo
	global_store_dwordx2 v[0:1], v[8:9], off
.LBB2_93:
	s_endpgm
.LBB2_94:
	v_mov_b32_e32 v8, 0
	v_mov_b32_e32 v9, 0
	s_mov_b32 s4, exec_lo
	v_cmpx_neq_f64_e64 0x7ff00000, |v[2:3]|
	s_cbranch_execz .LBB2_104
; %bb.95:
	s_mov_b32 s5, exec_lo
	v_cmpx_nlt_f64_e64 |v[2:3]|, 0.5
	s_xor_b32 s5, exec_lo, s5
                                        ; implicit-def: $vgpr8_vgpr9
	s_cbranch_execz .LBB2_101
; %bb.96:
	v_cmp_ngt_f64_e64 s1, 0x41d00000, |v[2:3]|
                                        ; implicit-def: $vgpr14
                                        ; implicit-def: $vgpr6_vgpr7
                                        ; implicit-def: $vgpr8_vgpr9
	s_and_saveexec_b32 s7, s1
	s_xor_b32 s1, exec_lo, s7
	s_cbranch_execz .LBB2_98
; %bb.97:
	v_ldexp_f64 v[6:7], |v[2:3]|, 0xffffff80
	v_cmp_le_f64_e64 vcc_lo, 0x7b000000, |v[2:3]|
	v_trig_preop_f64 v[8:9], |v[2:3]|, 0
	v_and_b32_e32 v14, 0x7fffffff, v3
	v_trig_preop_f64 v[25:26], |v[2:3]|, 2
	v_mov_b32_e32 v33, 0
	s_mov_b32 s10, 0x54442d18
	s_mov_b32 s11, 0x3ff921fb
	s_mov_b32 s12, 0x33145c07
	s_mov_b32 s13, 0x3c91a626
	v_cndmask_b32_e32 v7, v14, v7, vcc_lo
	v_cndmask_b32_e32 v6, v2, v6, vcc_lo
	v_trig_preop_f64 v[14:15], |v[2:3]|, 1
	v_mul_f64 v[16:17], v[8:9], v[6:7]
	v_mul_f64 v[31:32], v[25:26], v[6:7]
	;; [unrolled: 1-line block ×3, first 2 shown]
	v_fma_f64 v[8:9], v[8:9], v[6:7], -v[16:17]
	v_fma_f64 v[14:15], v[14:15], v[6:7], -v[19:20]
	;; [unrolled: 1-line block ×3, first 2 shown]
	v_add_f64 v[21:22], v[19:20], v[8:9]
	v_add_f64 v[23:24], v[21:22], -v[19:20]
	v_add_f64 v[29:30], v[16:17], v[21:22]
	v_add_f64 v[27:28], v[21:22], -v[23:24]
	v_add_f64 v[8:9], v[8:9], -v[23:24]
	v_ldexp_f64 v[23:24], v[29:30], -2
	v_add_f64 v[16:17], v[29:30], -v[16:17]
	v_add_f64 v[19:20], v[19:20], -v[27:28]
	v_add_f64 v[27:28], v[31:32], v[14:15]
	v_cmp_neq_f64_e64 vcc_lo, 0x7ff00000, |v[23:24]|
	v_add_f64 v[16:17], v[21:22], -v[16:17]
	v_add_f64 v[8:9], v[8:9], v[19:20]
	v_fract_f64_e32 v[19:20], v[23:24]
	v_add_f64 v[21:22], v[27:28], v[8:9]
	v_ldexp_f64 v[19:20], v[19:20], 2
	v_add_f64 v[23:24], v[16:17], v[21:22]
	v_cndmask_b32_e32 v20, 0, v20, vcc_lo
	v_cndmask_b32_e32 v19, 0, v19, vcc_lo
	v_add_f64 v[29:30], v[23:24], v[19:20]
	v_add_f64 v[16:17], v[23:24], -v[16:17]
	v_cmp_gt_f64_e32 vcc_lo, 0, v[29:30]
	v_add_f64 v[29:30], v[27:28], -v[31:32]
	v_cndmask_b32_e64 v34, 0, 0x40100000, vcc_lo
	v_add_f64 v[38:39], v[27:28], -v[29:30]
	v_add_f64 v[14:15], v[14:15], -v[29:30]
	v_add_f64 v[19:20], v[19:20], v[33:34]
	v_add_f64 v[34:35], v[21:22], -v[27:28]
	v_add_f64 v[29:30], v[31:32], -v[38:39]
	v_add_f64 v[36:37], v[23:24], v[19:20]
	;; [unrolled: 3-line block ×3, first 2 shown]
	v_cvt_i32_f64_e32 v36, v[36:37]
	v_add_f64 v[27:28], v[27:28], -v[40:41]
	v_cvt_f64_i32_e32 v[34:35], v36
	v_add_f64 v[8:9], v[8:9], v[27:28]
	v_add_f64 v[19:20], v[19:20], -v[34:35]
	v_add_f64 v[8:9], v[14:15], v[8:9]
	v_add_f64 v[14:15], v[21:22], -v[16:17]
	v_add_f64 v[25:26], v[23:24], v[19:20]
	v_add_f64 v[6:7], v[6:7], v[8:9]
	v_add_f64 v[8:9], v[25:26], -v[19:20]
	v_cmp_le_f64_e32 vcc_lo, 0.5, v[25:26]
	v_add_f64 v[6:7], v[14:15], v[6:7]
	v_add_f64 v[8:9], v[23:24], -v[8:9]
	v_cndmask_b32_e64 v34, 0, 0x3ff00000, vcc_lo
	v_add_co_ci_u32_e64 v14, null, 0, v36, vcc_lo
	v_add_f64 v[6:7], v[6:7], v[8:9]
	v_add_f64 v[8:9], v[25:26], -v[33:34]
	v_add_f64 v[15:16], v[8:9], v[6:7]
	v_mul_f64 v[19:20], v[15:16], s[10:11]
	v_add_f64 v[8:9], v[15:16], -v[8:9]
	v_fma_f64 v[21:22], v[15:16], s[10:11], -v[19:20]
	v_add_f64 v[6:7], v[6:7], -v[8:9]
	v_fma_f64 v[8:9], v[15:16], s[12:13], v[21:22]
	v_fma_f64 v[8:9], v[6:7], s[10:11], v[8:9]
	v_add_f64 v[6:7], v[19:20], v[8:9]
	v_add_f64 v[15:16], v[6:7], -v[19:20]
	v_add_f64 v[8:9], v[8:9], -v[15:16]
.LBB2_98:
	s_andn2_saveexec_b32 s1, s1
	s_cbranch_execz .LBB2_100
; %bb.99:
	s_mov_b32 s10, 0x6dc9c883
	s_mov_b32 s11, 0x3fe45f30
	s_mov_b32 s13, 0xbc91a626
	v_mul_f64 v[6:7], |v[2:3]|, s[10:11]
	s_mov_b32 s10, 0x54442d18
	s_mov_b32 s11, 0xbff921fb
	;; [unrolled: 1-line block ×3, first 2 shown]
	v_rndne_f64_e32 v[14:15], v[6:7]
	v_fma_f64 v[6:7], v[14:15], s[10:11], |v[2:3]|
	v_mul_f64 v[8:9], v[14:15], s[12:13]
	s_mov_b32 s10, 0x252049c0
	s_mov_b32 s11, 0xb97b839a
	v_fma_f64 v[19:20], v[14:15], s[12:13], v[6:7]
	v_add_f64 v[16:17], v[6:7], v[8:9]
	s_mov_b32 s13, 0x3c91a626
	v_add_f64 v[6:7], v[6:7], -v[16:17]
	v_add_f64 v[16:17], v[16:17], -v[19:20]
	v_add_f64 v[6:7], v[6:7], v[8:9]
	v_fma_f64 v[8:9], v[14:15], s[12:13], v[8:9]
	v_add_f64 v[6:7], v[16:17], v[6:7]
	v_add_f64 v[6:7], v[6:7], -v[8:9]
	v_fma_f64 v[8:9], v[14:15], s[10:11], v[6:7]
	v_cvt_i32_f64_e32 v14, v[14:15]
	v_add_f64 v[6:7], v[19:20], v[8:9]
	v_add_f64 v[16:17], v[6:7], -v[19:20]
	v_add_f64 v[8:9], v[8:9], -v[16:17]
.LBB2_100:
	s_or_b32 exec_lo, exec_lo, s1
	v_mul_f64 v[15:16], v[6:7], v[6:7]
	s_mov_b32 s10, 0xb42fdfa7
	s_mov_b32 s12, 0xf9a43bb8
	;; [unrolled: 1-line block ×6, first 2 shown]
	v_mul_f64 v[27:28], v[8:9], 0.5
	v_cmp_class_f64_e64 s1, v[2:3], 0x1f8
	v_fma_f64 v[19:20], v[15:16], s[12:13], s[10:11]
	s_mov_b32 s10, 0x9037ab78
	s_mov_b32 s12, 0x46cc5e42
	;; [unrolled: 1-line block ×4, first 2 shown]
	v_mul_f64 v[23:24], v[15:16], 0.5
	v_fma_f64 v[21:22], v[15:16], s[12:13], s[10:11]
	s_mov_b32 s10, 0xa17f65f6
	s_mov_b32 s12, 0x19e83e5c
	;; [unrolled: 1-line block ×4, first 2 shown]
	v_mul_f64 v[29:30], v[6:7], -v[15:16]
	v_fma_f64 v[19:20], v[15:16], v[19:20], s[14:15]
	v_add_f64 v[25:26], -v[23:24], 1.0
	v_fma_f64 v[21:22], v[15:16], v[21:22], s[10:11]
	s_mov_b32 s10, 0x19f4ec90
	s_mov_b32 s11, 0x3efa01a0
	v_fma_f64 v[19:20], v[15:16], v[19:20], s[12:13]
	s_mov_b32 s12, 0x11110bb3
	s_mov_b32 s13, 0x3f811111
	v_add_f64 v[31:32], -v[25:26], 1.0
	v_fma_f64 v[21:22], v[15:16], v[21:22], s[10:11]
	s_mov_b32 s10, 0x16c16967
	s_mov_b32 s11, 0xbf56c16c
	v_fma_f64 v[19:20], v[15:16], v[19:20], s[12:13]
	v_add_f64 v[23:24], v[31:32], -v[23:24]
	v_fma_f64 v[21:22], v[15:16], v[21:22], s[10:11]
	s_mov_b32 s11, 0x3fa55555
	s_mov_b32 s10, 0x55555555
	v_fma_f64 v[19:20], v[29:30], v[19:20], v[27:28]
	v_mul_f64 v[27:28], v[15:16], v[15:16]
	v_fma_f64 v[23:24], v[6:7], -v[8:9], v[23:24]
	v_fma_f64 v[21:22], v[15:16], v[21:22], s[10:11]
	s_mov_b32 s11, 0xbfc55555
	v_fma_f64 v[8:9], v[15:16], v[19:20], -v[8:9]
	v_fma_f64 v[15:16], v[27:28], v[21:22], v[23:24]
	v_fma_f64 v[8:9], v[29:30], s[10:11], v[8:9]
	v_add_f64 v[15:16], v[25:26], v[15:16]
	v_add_f64 v[6:7], v[6:7], -v[8:9]
	v_and_b32_e32 v8, 1, v14
	v_cmp_eq_u32_e32 vcc_lo, 0, v8
	v_lshlrev_b32_e32 v8, 30, v14
	v_xor_b32_e32 v8, v8, v3
	v_and_b32_e32 v8, 0x80000000, v8
	v_cndmask_b32_e32 v7, v16, v7, vcc_lo
	v_cndmask_b32_e32 v6, v15, v6, vcc_lo
	v_xor_b32_e32 v7, v7, v8
	v_cndmask_b32_e64 v6, 0, v6, s1
	v_cndmask_b32_e64 v7, 0x7ff80000, v7, s1
	v_div_scale_f64 v[8:9], null, v[2:3], v[2:3], v[6:7]
	v_rcp_f64_e32 v[14:15], v[8:9]
	v_fma_f64 v[16:17], -v[8:9], v[14:15], 1.0
	v_fma_f64 v[14:15], v[14:15], v[16:17], v[14:15]
	v_fma_f64 v[16:17], -v[8:9], v[14:15], 1.0
	v_fma_f64 v[14:15], v[14:15], v[16:17], v[14:15]
	v_div_scale_f64 v[16:17], vcc_lo, v[6:7], v[2:3], v[6:7]
	v_mul_f64 v[19:20], v[16:17], v[14:15]
	v_fma_f64 v[8:9], -v[8:9], v[19:20], v[16:17]
	v_div_fmas_f64 v[8:9], v[8:9], v[14:15], v[19:20]
	v_div_fixup_f64 v[8:9], v[8:9], v[2:3], v[6:7]
                                        ; implicit-def: $vgpr2_vgpr3
.LBB2_101:
	s_andn2_saveexec_b32 s1, s5
	s_cbranch_execz .LBB2_103
; %bb.102:
	v_mul_f64 v[2:3], v[2:3], v[2:3]
	s_mov_b32 s10, 0x67f544e4
	s_mov_b32 s12, 0x13a86d09
	;; [unrolled: 1-line block ×4, first 2 shown]
	v_fma_f64 v[6:7], v[2:3], s[12:13], s[10:11]
	s_mov_b32 s10, 0xa556c734
	s_mov_b32 s11, 0x3ec71de3
	v_fma_f64 v[6:7], v[2:3], v[6:7], s[10:11]
	s_mov_b32 s10, 0x1a01a01a
	s_mov_b32 s11, 0xbf2a01a0
	v_fma_f64 v[6:7], v[2:3], v[6:7], s[10:11]
	s_mov_b32 s10, 0x11111111
	s_mov_b32 s11, 0x3f811111
	v_fma_f64 v[6:7], v[2:3], v[6:7], s[10:11]
	s_mov_b32 s10, 0x55555555
	s_mov_b32 s11, 0xbfc55555
	v_fma_f64 v[6:7], v[2:3], v[6:7], s[10:11]
	v_fma_f64 v[8:9], v[2:3], v[6:7], 1.0
.LBB2_103:
	s_or_b32 exec_lo, exec_lo, s1
.LBB2_104:
	s_or_b32 exec_lo, exec_lo, s4
	s_or_b32 exec_lo, exec_lo, s3
	s_and_saveexec_b32 s1, s0
	s_xor_b32 s0, exec_lo, s1
	s_cbranch_execz .LBB2_89
.LBB2_105:
	v_mov_b32_e32 v2, 0
	v_lshlrev_b64 v[0:1], 3, v[1:2]
	v_add_co_u32 v2, vcc_lo, s8, v0
	v_add_co_ci_u32_e64 v3, null, s9, v1, vcc_lo
	v_mov_b32_e32 v0, v18
	global_store_dwordx2 v[2:3], v[4:5], off
	s_or_b32 exec_lo, exec_lo, s0
	s_mov_b32 s0, exec_lo
	v_cmpx_gt_i32_e64 s6, v0
	s_cbranch_execz .LBB2_90
.LBB2_106:
	v_add_nc_u32_e32 v1, s2, v0
	v_mov_b32_e32 v2, 0
	v_add_nc_u32_e32 v0, 0x100, v0
	v_lshlrev_b64 v[1:2], 3, v[1:2]
	v_add_co_u32 v1, vcc_lo, s8, v1
	v_add_co_ci_u32_e64 v2, null, s9, v2, vcc_lo
	global_store_dwordx2 v[1:2], v[12:13], off
	s_or_b32 exec_lo, exec_lo, s0
	s_mov_b32 s0, exec_lo
	v_cmpx_gt_i32_e64 s6, v0
	s_cbranch_execz .LBB2_91
.LBB2_107:
	v_add_nc_u32_e32 v1, s2, v0
	v_mov_b32_e32 v2, 0
	v_add_nc_u32_e32 v0, 0x100, v0
	v_lshlrev_b64 v[1:2], 3, v[1:2]
	v_add_co_u32 v1, vcc_lo, s8, v1
	v_add_co_ci_u32_e64 v2, null, s9, v2, vcc_lo
	global_store_dwordx2 v[1:2], v[10:11], off
	s_or_b32 exec_lo, exec_lo, s0
	s_mov_b32 s0, exec_lo
	v_cmpx_gt_i32_e64 s6, v0
	s_cbranch_execnz .LBB2_92
	s_branch .LBB2_93
	.section	.rodata,"a",@progbits
	.p2align	6, 0x0
	.amdhsa_kernel _ZN2at6native29vectorized_elementwise_kernelILi4EZZZNS0_12_GLOBAL__N_131spherical_bessel_j0_kernel_cudaERNS_18TensorIteratorBaseEENKUlvE_clEvENKUlvE_clEvEUldE_St5arrayIPcLm2EEEEviT0_T1_
		.amdhsa_group_segment_fixed_size 0
		.amdhsa_private_segment_fixed_size 0
		.amdhsa_kernarg_size 24
		.amdhsa_user_sgpr_count 6
		.amdhsa_user_sgpr_private_segment_buffer 1
		.amdhsa_user_sgpr_dispatch_ptr 0
		.amdhsa_user_sgpr_queue_ptr 0
		.amdhsa_user_sgpr_kernarg_segment_ptr 1
		.amdhsa_user_sgpr_dispatch_id 0
		.amdhsa_user_sgpr_flat_scratch_init 0
		.amdhsa_user_sgpr_private_segment_size 0
		.amdhsa_wavefront_size32 1
		.amdhsa_uses_dynamic_stack 0
		.amdhsa_system_sgpr_private_segment_wavefront_offset 0
		.amdhsa_system_sgpr_workgroup_id_x 1
		.amdhsa_system_sgpr_workgroup_id_y 0
		.amdhsa_system_sgpr_workgroup_id_z 0
		.amdhsa_system_sgpr_workgroup_info 0
		.amdhsa_system_vgpr_workitem_id 0
		.amdhsa_next_free_vgpr 46
		.amdhsa_next_free_sgpr 18
		.amdhsa_reserve_vcc 1
		.amdhsa_reserve_flat_scratch 0
		.amdhsa_float_round_mode_32 0
		.amdhsa_float_round_mode_16_64 0
		.amdhsa_float_denorm_mode_32 3
		.amdhsa_float_denorm_mode_16_64 3
		.amdhsa_dx10_clamp 1
		.amdhsa_ieee_mode 1
		.amdhsa_fp16_overflow 0
		.amdhsa_workgroup_processor_mode 1
		.amdhsa_memory_ordered 1
		.amdhsa_forward_progress 1
		.amdhsa_shared_vgpr_count 0
		.amdhsa_exception_fp_ieee_invalid_op 0
		.amdhsa_exception_fp_denorm_src 0
		.amdhsa_exception_fp_ieee_div_zero 0
		.amdhsa_exception_fp_ieee_overflow 0
		.amdhsa_exception_fp_ieee_underflow 0
		.amdhsa_exception_fp_ieee_inexact 0
		.amdhsa_exception_int_div_zero 0
	.end_amdhsa_kernel
	.section	.text._ZN2at6native29vectorized_elementwise_kernelILi4EZZZNS0_12_GLOBAL__N_131spherical_bessel_j0_kernel_cudaERNS_18TensorIteratorBaseEENKUlvE_clEvENKUlvE_clEvEUldE_St5arrayIPcLm2EEEEviT0_T1_,"axG",@progbits,_ZN2at6native29vectorized_elementwise_kernelILi4EZZZNS0_12_GLOBAL__N_131spherical_bessel_j0_kernel_cudaERNS_18TensorIteratorBaseEENKUlvE_clEvENKUlvE_clEvEUldE_St5arrayIPcLm2EEEEviT0_T1_,comdat
.Lfunc_end2:
	.size	_ZN2at6native29vectorized_elementwise_kernelILi4EZZZNS0_12_GLOBAL__N_131spherical_bessel_j0_kernel_cudaERNS_18TensorIteratorBaseEENKUlvE_clEvENKUlvE_clEvEUldE_St5arrayIPcLm2EEEEviT0_T1_, .Lfunc_end2-_ZN2at6native29vectorized_elementwise_kernelILi4EZZZNS0_12_GLOBAL__N_131spherical_bessel_j0_kernel_cudaERNS_18TensorIteratorBaseEENKUlvE_clEvENKUlvE_clEvEUldE_St5arrayIPcLm2EEEEviT0_T1_
                                        ; -- End function
	.set _ZN2at6native29vectorized_elementwise_kernelILi4EZZZNS0_12_GLOBAL__N_131spherical_bessel_j0_kernel_cudaERNS_18TensorIteratorBaseEENKUlvE_clEvENKUlvE_clEvEUldE_St5arrayIPcLm2EEEEviT0_T1_.num_vgpr, 46
	.set _ZN2at6native29vectorized_elementwise_kernelILi4EZZZNS0_12_GLOBAL__N_131spherical_bessel_j0_kernel_cudaERNS_18TensorIteratorBaseEENKUlvE_clEvENKUlvE_clEvEUldE_St5arrayIPcLm2EEEEviT0_T1_.num_agpr, 0
	.set _ZN2at6native29vectorized_elementwise_kernelILi4EZZZNS0_12_GLOBAL__N_131spherical_bessel_j0_kernel_cudaERNS_18TensorIteratorBaseEENKUlvE_clEvENKUlvE_clEvEUldE_St5arrayIPcLm2EEEEviT0_T1_.numbered_sgpr, 18
	.set _ZN2at6native29vectorized_elementwise_kernelILi4EZZZNS0_12_GLOBAL__N_131spherical_bessel_j0_kernel_cudaERNS_18TensorIteratorBaseEENKUlvE_clEvENKUlvE_clEvEUldE_St5arrayIPcLm2EEEEviT0_T1_.num_named_barrier, 0
	.set _ZN2at6native29vectorized_elementwise_kernelILi4EZZZNS0_12_GLOBAL__N_131spherical_bessel_j0_kernel_cudaERNS_18TensorIteratorBaseEENKUlvE_clEvENKUlvE_clEvEUldE_St5arrayIPcLm2EEEEviT0_T1_.private_seg_size, 0
	.set _ZN2at6native29vectorized_elementwise_kernelILi4EZZZNS0_12_GLOBAL__N_131spherical_bessel_j0_kernel_cudaERNS_18TensorIteratorBaseEENKUlvE_clEvENKUlvE_clEvEUldE_St5arrayIPcLm2EEEEviT0_T1_.uses_vcc, 1
	.set _ZN2at6native29vectorized_elementwise_kernelILi4EZZZNS0_12_GLOBAL__N_131spherical_bessel_j0_kernel_cudaERNS_18TensorIteratorBaseEENKUlvE_clEvENKUlvE_clEvEUldE_St5arrayIPcLm2EEEEviT0_T1_.uses_flat_scratch, 0
	.set _ZN2at6native29vectorized_elementwise_kernelILi4EZZZNS0_12_GLOBAL__N_131spherical_bessel_j0_kernel_cudaERNS_18TensorIteratorBaseEENKUlvE_clEvENKUlvE_clEvEUldE_St5arrayIPcLm2EEEEviT0_T1_.has_dyn_sized_stack, 0
	.set _ZN2at6native29vectorized_elementwise_kernelILi4EZZZNS0_12_GLOBAL__N_131spherical_bessel_j0_kernel_cudaERNS_18TensorIteratorBaseEENKUlvE_clEvENKUlvE_clEvEUldE_St5arrayIPcLm2EEEEviT0_T1_.has_recursion, 0
	.set _ZN2at6native29vectorized_elementwise_kernelILi4EZZZNS0_12_GLOBAL__N_131spherical_bessel_j0_kernel_cudaERNS_18TensorIteratorBaseEENKUlvE_clEvENKUlvE_clEvEUldE_St5arrayIPcLm2EEEEviT0_T1_.has_indirect_call, 0
	.section	.AMDGPU.csdata,"",@progbits
; Kernel info:
; codeLenInByte = 13596
; TotalNumSgprs: 20
; NumVgprs: 46
; ScratchSize: 0
; MemoryBound: 1
; FloatMode: 240
; IeeeMode: 1
; LDSByteSize: 0 bytes/workgroup (compile time only)
; SGPRBlocks: 0
; VGPRBlocks: 5
; NumSGPRsForWavesPerEU: 20
; NumVGPRsForWavesPerEU: 46
; Occupancy: 16
; WaveLimiterHint : 0
; COMPUTE_PGM_RSRC2:SCRATCH_EN: 0
; COMPUTE_PGM_RSRC2:USER_SGPR: 6
; COMPUTE_PGM_RSRC2:TRAP_HANDLER: 0
; COMPUTE_PGM_RSRC2:TGID_X_EN: 1
; COMPUTE_PGM_RSRC2:TGID_Y_EN: 0
; COMPUTE_PGM_RSRC2:TGID_Z_EN: 0
; COMPUTE_PGM_RSRC2:TIDIG_COMP_CNT: 0
	.section	.text._ZN2at6native29vectorized_elementwise_kernelILi2EZZZNS0_12_GLOBAL__N_131spherical_bessel_j0_kernel_cudaERNS_18TensorIteratorBaseEENKUlvE_clEvENKUlvE_clEvEUldE_St5arrayIPcLm2EEEEviT0_T1_,"axG",@progbits,_ZN2at6native29vectorized_elementwise_kernelILi2EZZZNS0_12_GLOBAL__N_131spherical_bessel_j0_kernel_cudaERNS_18TensorIteratorBaseEENKUlvE_clEvENKUlvE_clEvEUldE_St5arrayIPcLm2EEEEviT0_T1_,comdat
	.globl	_ZN2at6native29vectorized_elementwise_kernelILi2EZZZNS0_12_GLOBAL__N_131spherical_bessel_j0_kernel_cudaERNS_18TensorIteratorBaseEENKUlvE_clEvENKUlvE_clEvEUldE_St5arrayIPcLm2EEEEviT0_T1_ ; -- Begin function _ZN2at6native29vectorized_elementwise_kernelILi2EZZZNS0_12_GLOBAL__N_131spherical_bessel_j0_kernel_cudaERNS_18TensorIteratorBaseEENKUlvE_clEvENKUlvE_clEvEUldE_St5arrayIPcLm2EEEEviT0_T1_
	.p2align	8
	.type	_ZN2at6native29vectorized_elementwise_kernelILi2EZZZNS0_12_GLOBAL__N_131spherical_bessel_j0_kernel_cudaERNS_18TensorIteratorBaseEENKUlvE_clEvENKUlvE_clEvEUldE_St5arrayIPcLm2EEEEviT0_T1_,@function
_ZN2at6native29vectorized_elementwise_kernelILi2EZZZNS0_12_GLOBAL__N_131spherical_bessel_j0_kernel_cudaERNS_18TensorIteratorBaseEENKUlvE_clEvENKUlvE_clEvEUldE_St5arrayIPcLm2EEEEviT0_T1_: ; @_ZN2at6native29vectorized_elementwise_kernelILi2EZZZNS0_12_GLOBAL__N_131spherical_bessel_j0_kernel_cudaERNS_18TensorIteratorBaseEENKUlvE_clEvENKUlvE_clEvEUldE_St5arrayIPcLm2EEEEviT0_T1_
; %bb.0:
	s_clause 0x1
	s_load_dword s0, s[4:5], 0x0
	s_load_dwordx4 s[8:11], s[4:5], 0x8
	s_lshl_b32 s2, s6, 10
	s_waitcnt lgkmcnt(0)
	s_sub_i32 s6, s0, s2
	s_mov_b32 s0, -1
	s_cmpk_gt_i32 s6, 0x3ff
	s_cbranch_scc0 .LBB3_42
; %bb.1:
	s_ashr_i32 s3, s2, 31
	v_lshlrev_b32_e32 v15, 4, v0
	s_lshl_b64 s[4:5], s[2:3], 3
	v_mov_b32_e32 v3, 0
	s_add_u32 s0, s10, s4
	s_addc_u32 s1, s11, s5
	v_mov_b32_e32 v4, 0
	global_load_dwordx4 v[9:12], v15, s[0:1]
	v_add_co_u32 v1, s0, s0, v15
	v_add_co_ci_u32_e64 v2, null, s1, 0, s0
	s_mov_b32 s1, exec_lo
	v_add_co_u32 v1, vcc_lo, 0x1000, v1
	v_add_co_ci_u32_e64 v2, null, 0, v2, vcc_lo
	global_load_dwordx4 v[5:8], v[1:2], off
	v_mov_b32_e32 v1, 0
	v_mov_b32_e32 v2, 0
	s_waitcnt vmcnt(1)
	v_cmpx_neq_f64_e64 0x7ff00000, |v[9:10]|
	s_cbranch_execz .LBB3_11
; %bb.2:
	s_mov_b32 s3, exec_lo
	v_cmpx_nlt_f64_e64 |v[9:10]|, 0.5
	s_xor_b32 s3, exec_lo, s3
	s_cbranch_execz .LBB3_8
; %bb.3:
	v_cmp_ngt_f64_e64 s0, 0x41d00000, |v[9:10]|
                                        ; implicit-def: $vgpr16
                                        ; implicit-def: $vgpr1_vgpr2
                                        ; implicit-def: $vgpr13_vgpr14
	s_and_saveexec_b32 s7, s0
	s_xor_b32 s0, exec_lo, s7
	s_cbranch_execz .LBB3_5
; %bb.4:
	v_ldexp_f64 v[1:2], |v[9:10]|, 0xffffff80
	v_cmp_le_f64_e64 vcc_lo, 0x7b000000, |v[9:10]|
	v_trig_preop_f64 v[13:14], |v[9:10]|, 0
	v_and_b32_e32 v16, 0x7fffffff, v10
	v_trig_preop_f64 v[26:27], |v[9:10]|, 2
	v_mov_b32_e32 v34, 0
	s_mov_b32 s12, 0x54442d18
	s_mov_b32 s13, 0x3ff921fb
	;; [unrolled: 1-line block ×4, first 2 shown]
	v_cndmask_b32_e32 v2, v16, v2, vcc_lo
	v_cndmask_b32_e32 v1, v9, v1, vcc_lo
	v_trig_preop_f64 v[16:17], |v[9:10]|, 1
	v_mul_f64 v[18:19], v[13:14], v[1:2]
	v_mul_f64 v[32:33], v[26:27], v[1:2]
	;; [unrolled: 1-line block ×3, first 2 shown]
	v_fma_f64 v[13:14], v[13:14], v[1:2], -v[18:19]
	v_fma_f64 v[16:17], v[16:17], v[1:2], -v[20:21]
	;; [unrolled: 1-line block ×3, first 2 shown]
	v_add_f64 v[22:23], v[20:21], v[13:14]
	v_add_f64 v[24:25], v[22:23], -v[20:21]
	v_add_f64 v[30:31], v[18:19], v[22:23]
	v_add_f64 v[28:29], v[22:23], -v[24:25]
	v_add_f64 v[13:14], v[13:14], -v[24:25]
	v_ldexp_f64 v[24:25], v[30:31], -2
	v_add_f64 v[18:19], v[30:31], -v[18:19]
	v_add_f64 v[20:21], v[20:21], -v[28:29]
	v_add_f64 v[28:29], v[32:33], v[16:17]
	v_cmp_neq_f64_e64 vcc_lo, 0x7ff00000, |v[24:25]|
	v_add_f64 v[18:19], v[22:23], -v[18:19]
	v_add_f64 v[13:14], v[13:14], v[20:21]
	v_fract_f64_e32 v[20:21], v[24:25]
	v_add_f64 v[22:23], v[28:29], v[13:14]
	v_ldexp_f64 v[20:21], v[20:21], 2
	v_add_f64 v[24:25], v[18:19], v[22:23]
	v_cndmask_b32_e32 v21, 0, v21, vcc_lo
	v_cndmask_b32_e32 v20, 0, v20, vcc_lo
	v_add_f64 v[30:31], v[24:25], v[20:21]
	v_add_f64 v[18:19], v[24:25], -v[18:19]
	v_cmp_gt_f64_e32 vcc_lo, 0, v[30:31]
	v_add_f64 v[30:31], v[28:29], -v[32:33]
	v_cndmask_b32_e64 v35, 0, 0x40100000, vcc_lo
	v_add_f64 v[39:40], v[28:29], -v[30:31]
	v_add_f64 v[16:17], v[16:17], -v[30:31]
	v_add_f64 v[20:21], v[20:21], v[34:35]
	v_add_f64 v[35:36], v[22:23], -v[28:29]
	v_add_f64 v[30:31], v[32:33], -v[39:40]
	v_add_f64 v[37:38], v[24:25], v[20:21]
	;; [unrolled: 3-line block ×3, first 2 shown]
	v_cvt_i32_f64_e32 v37, v[37:38]
	v_add_f64 v[28:29], v[28:29], -v[41:42]
	v_cvt_f64_i32_e32 v[35:36], v37
	v_add_f64 v[13:14], v[13:14], v[28:29]
	v_add_f64 v[20:21], v[20:21], -v[35:36]
	v_add_f64 v[13:14], v[16:17], v[13:14]
	v_add_f64 v[16:17], v[22:23], -v[18:19]
	v_add_f64 v[26:27], v[24:25], v[20:21]
	v_add_f64 v[1:2], v[1:2], v[13:14]
	v_add_f64 v[13:14], v[26:27], -v[20:21]
	v_cmp_le_f64_e32 vcc_lo, 0.5, v[26:27]
	v_add_f64 v[1:2], v[16:17], v[1:2]
	v_add_f64 v[13:14], v[24:25], -v[13:14]
	v_cndmask_b32_e64 v35, 0, 0x3ff00000, vcc_lo
	v_add_co_ci_u32_e64 v16, null, 0, v37, vcc_lo
	v_add_f64 v[1:2], v[1:2], v[13:14]
	v_add_f64 v[13:14], v[26:27], -v[34:35]
	v_add_f64 v[17:18], v[13:14], v[1:2]
	v_mul_f64 v[19:20], v[17:18], s[12:13]
	v_add_f64 v[13:14], v[17:18], -v[13:14]
	v_fma_f64 v[21:22], v[17:18], s[12:13], -v[19:20]
	v_add_f64 v[1:2], v[1:2], -v[13:14]
	v_fma_f64 v[13:14], v[17:18], s[14:15], v[21:22]
	v_fma_f64 v[13:14], v[1:2], s[12:13], v[13:14]
	v_add_f64 v[1:2], v[19:20], v[13:14]
	v_add_f64 v[17:18], v[1:2], -v[19:20]
	v_add_f64 v[13:14], v[13:14], -v[17:18]
.LBB3_5:
	s_andn2_saveexec_b32 s0, s0
	s_cbranch_execz .LBB3_7
; %bb.6:
	s_mov_b32 s12, 0x6dc9c883
	s_mov_b32 s13, 0x3fe45f30
	;; [unrolled: 1-line block ×3, first 2 shown]
	v_mul_f64 v[1:2], |v[9:10]|, s[12:13]
	s_mov_b32 s12, 0x54442d18
	s_mov_b32 s13, 0xbff921fb
	;; [unrolled: 1-line block ×3, first 2 shown]
	v_rndne_f64_e32 v[16:17], v[1:2]
	v_fma_f64 v[1:2], v[16:17], s[12:13], |v[9:10]|
	v_mul_f64 v[13:14], v[16:17], s[14:15]
	s_mov_b32 s12, 0x252049c0
	s_mov_b32 s13, 0xb97b839a
	v_fma_f64 v[20:21], v[16:17], s[14:15], v[1:2]
	v_add_f64 v[18:19], v[1:2], v[13:14]
	s_mov_b32 s15, 0x3c91a626
	v_add_f64 v[1:2], v[1:2], -v[18:19]
	v_add_f64 v[18:19], v[18:19], -v[20:21]
	v_add_f64 v[1:2], v[1:2], v[13:14]
	v_fma_f64 v[13:14], v[16:17], s[14:15], v[13:14]
	v_add_f64 v[1:2], v[18:19], v[1:2]
	v_add_f64 v[1:2], v[1:2], -v[13:14]
	v_fma_f64 v[13:14], v[16:17], s[12:13], v[1:2]
	v_cvt_i32_f64_e32 v16, v[16:17]
	v_add_f64 v[1:2], v[20:21], v[13:14]
	v_add_f64 v[18:19], v[1:2], -v[20:21]
	v_add_f64 v[13:14], v[13:14], -v[18:19]
.LBB3_7:
	s_or_b32 exec_lo, exec_lo, s0
	v_mul_f64 v[17:18], v[1:2], v[1:2]
	s_mov_b32 s12, 0xb42fdfa7
	s_mov_b32 s14, 0xf9a43bb8
	;; [unrolled: 1-line block ×6, first 2 shown]
	v_mul_f64 v[27:28], v[13:14], 0.5
	v_cmp_class_f64_e64 s0, v[9:10], 0x1f8
	v_fma_f64 v[19:20], v[17:18], s[14:15], s[12:13]
	s_mov_b32 s12, 0x9037ab78
	s_mov_b32 s14, 0x46cc5e42
	;; [unrolled: 1-line block ×4, first 2 shown]
	v_mul_f64 v[23:24], v[17:18], 0.5
	v_fma_f64 v[21:22], v[17:18], s[14:15], s[12:13]
	s_mov_b32 s12, 0xa17f65f6
	s_mov_b32 s14, 0x19e83e5c
	;; [unrolled: 1-line block ×4, first 2 shown]
	v_mul_f64 v[29:30], v[1:2], -v[17:18]
	v_fma_f64 v[19:20], v[17:18], v[19:20], s[16:17]
	v_add_f64 v[25:26], -v[23:24], 1.0
	v_fma_f64 v[21:22], v[17:18], v[21:22], s[12:13]
	s_mov_b32 s12, 0x19f4ec90
	s_mov_b32 s13, 0x3efa01a0
	v_fma_f64 v[19:20], v[17:18], v[19:20], s[14:15]
	s_mov_b32 s14, 0x11110bb3
	s_mov_b32 s15, 0x3f811111
	v_add_f64 v[31:32], -v[25:26], 1.0
	v_fma_f64 v[21:22], v[17:18], v[21:22], s[12:13]
	s_mov_b32 s12, 0x16c16967
	s_mov_b32 s13, 0xbf56c16c
	v_fma_f64 v[19:20], v[17:18], v[19:20], s[14:15]
	v_add_f64 v[23:24], v[31:32], -v[23:24]
	v_fma_f64 v[21:22], v[17:18], v[21:22], s[12:13]
	s_mov_b32 s13, 0x3fa55555
	s_mov_b32 s12, 0x55555555
	v_fma_f64 v[19:20], v[29:30], v[19:20], v[27:28]
	v_mul_f64 v[27:28], v[17:18], v[17:18]
	v_fma_f64 v[23:24], v[1:2], -v[13:14], v[23:24]
	v_fma_f64 v[21:22], v[17:18], v[21:22], s[12:13]
	s_mov_b32 s13, 0xbfc55555
	v_fma_f64 v[13:14], v[17:18], v[19:20], -v[13:14]
	v_fma_f64 v[17:18], v[27:28], v[21:22], v[23:24]
	v_fma_f64 v[13:14], v[29:30], s[12:13], v[13:14]
	v_add_f64 v[17:18], v[25:26], v[17:18]
	v_add_f64 v[1:2], v[1:2], -v[13:14]
	v_and_b32_e32 v13, 1, v16
	v_cmp_eq_u32_e32 vcc_lo, 0, v13
	v_lshlrev_b32_e32 v13, 30, v16
	v_xor_b32_e32 v13, v13, v10
	v_and_b32_e32 v13, 0x80000000, v13
	v_cndmask_b32_e32 v2, v18, v2, vcc_lo
	v_cndmask_b32_e32 v1, v17, v1, vcc_lo
	v_xor_b32_e32 v2, v2, v13
	v_cndmask_b32_e64 v1, 0, v1, s0
	v_cndmask_b32_e64 v2, 0x7ff80000, v2, s0
	v_div_scale_f64 v[13:14], null, v[9:10], v[9:10], v[1:2]
	v_rcp_f64_e32 v[16:17], v[13:14]
	v_fma_f64 v[18:19], -v[13:14], v[16:17], 1.0
	v_fma_f64 v[16:17], v[16:17], v[18:19], v[16:17]
	v_fma_f64 v[18:19], -v[13:14], v[16:17], 1.0
	v_fma_f64 v[16:17], v[16:17], v[18:19], v[16:17]
	v_div_scale_f64 v[18:19], vcc_lo, v[1:2], v[9:10], v[1:2]
	v_mul_f64 v[20:21], v[18:19], v[16:17]
	v_fma_f64 v[13:14], -v[13:14], v[20:21], v[18:19]
	v_div_fmas_f64 v[13:14], v[13:14], v[16:17], v[20:21]
	v_div_fixup_f64 v[1:2], v[13:14], v[9:10], v[1:2]
.LBB3_8:
	s_andn2_saveexec_b32 s0, s3
	s_cbranch_execz .LBB3_10
; %bb.9:
	v_mul_f64 v[1:2], v[9:10], v[9:10]
	s_mov_b32 s12, 0x67f544e4
	s_mov_b32 s14, 0x13a86d09
	;; [unrolled: 1-line block ×4, first 2 shown]
	v_fma_f64 v[9:10], v[1:2], s[14:15], s[12:13]
	s_mov_b32 s12, 0xa556c734
	s_mov_b32 s13, 0x3ec71de3
	v_fma_f64 v[9:10], v[1:2], v[9:10], s[12:13]
	s_mov_b32 s12, 0x1a01a01a
	s_mov_b32 s13, 0xbf2a01a0
	;; [unrolled: 3-line block ×4, first 2 shown]
	v_fma_f64 v[9:10], v[1:2], v[9:10], s[12:13]
	v_fma_f64 v[1:2], v[1:2], v[9:10], 1.0
.LBB3_10:
	s_or_b32 exec_lo, exec_lo, s0
.LBB3_11:
	s_or_b32 exec_lo, exec_lo, s1
	s_mov_b32 s1, exec_lo
	v_cmpx_neq_f64_e64 0x7ff00000, |v[11:12]|
	s_cbranch_execz .LBB3_21
; %bb.12:
	s_mov_b32 s3, exec_lo
	v_cmpx_nlt_f64_e64 |v[11:12]|, 0.5
	s_xor_b32 s3, exec_lo, s3
	s_cbranch_execz .LBB3_18
; %bb.13:
	v_cmp_ngt_f64_e64 s0, 0x41d00000, |v[11:12]|
                                        ; implicit-def: $vgpr13
                                        ; implicit-def: $vgpr3_vgpr4
                                        ; implicit-def: $vgpr9_vgpr10
	s_and_saveexec_b32 s7, s0
	s_xor_b32 s0, exec_lo, s7
	s_cbranch_execz .LBB3_15
; %bb.14:
	v_ldexp_f64 v[3:4], |v[11:12]|, 0xffffff80
	v_cmp_le_f64_e64 vcc_lo, 0x7b000000, |v[11:12]|
	v_trig_preop_f64 v[9:10], |v[11:12]|, 0
	v_and_b32_e32 v13, 0x7fffffff, v12
	v_trig_preop_f64 v[24:25], |v[11:12]|, 2
	v_mov_b32_e32 v32, 0
	s_mov_b32 s12, 0x54442d18
	s_mov_b32 s13, 0x3ff921fb
	;; [unrolled: 1-line block ×4, first 2 shown]
	v_cndmask_b32_e32 v4, v13, v4, vcc_lo
	v_cndmask_b32_e32 v3, v11, v3, vcc_lo
	v_trig_preop_f64 v[13:14], |v[11:12]|, 1
	v_mul_f64 v[16:17], v[9:10], v[3:4]
	v_mul_f64 v[30:31], v[24:25], v[3:4]
	;; [unrolled: 1-line block ×3, first 2 shown]
	v_fma_f64 v[9:10], v[9:10], v[3:4], -v[16:17]
	v_fma_f64 v[13:14], v[13:14], v[3:4], -v[18:19]
	;; [unrolled: 1-line block ×3, first 2 shown]
	v_add_f64 v[20:21], v[18:19], v[9:10]
	v_add_f64 v[22:23], v[20:21], -v[18:19]
	v_add_f64 v[28:29], v[16:17], v[20:21]
	v_add_f64 v[26:27], v[20:21], -v[22:23]
	v_add_f64 v[9:10], v[9:10], -v[22:23]
	v_ldexp_f64 v[22:23], v[28:29], -2
	v_add_f64 v[16:17], v[28:29], -v[16:17]
	v_add_f64 v[18:19], v[18:19], -v[26:27]
	v_add_f64 v[26:27], v[30:31], v[13:14]
	v_cmp_neq_f64_e64 vcc_lo, 0x7ff00000, |v[22:23]|
	v_add_f64 v[16:17], v[20:21], -v[16:17]
	v_add_f64 v[9:10], v[9:10], v[18:19]
	v_fract_f64_e32 v[18:19], v[22:23]
	v_add_f64 v[20:21], v[26:27], v[9:10]
	v_ldexp_f64 v[18:19], v[18:19], 2
	v_add_f64 v[22:23], v[16:17], v[20:21]
	v_cndmask_b32_e32 v19, 0, v19, vcc_lo
	v_cndmask_b32_e32 v18, 0, v18, vcc_lo
	v_add_f64 v[28:29], v[22:23], v[18:19]
	v_add_f64 v[16:17], v[22:23], -v[16:17]
	v_cmp_gt_f64_e32 vcc_lo, 0, v[28:29]
	v_add_f64 v[28:29], v[26:27], -v[30:31]
	v_cndmask_b32_e64 v33, 0, 0x40100000, vcc_lo
	v_add_f64 v[37:38], v[26:27], -v[28:29]
	v_add_f64 v[13:14], v[13:14], -v[28:29]
	v_add_f64 v[18:19], v[18:19], v[32:33]
	v_add_f64 v[33:34], v[20:21], -v[26:27]
	v_add_f64 v[28:29], v[30:31], -v[37:38]
	v_add_f64 v[35:36], v[22:23], v[18:19]
	;; [unrolled: 3-line block ×3, first 2 shown]
	v_cvt_i32_f64_e32 v35, v[35:36]
	v_add_f64 v[26:27], v[26:27], -v[39:40]
	v_cvt_f64_i32_e32 v[33:34], v35
	v_add_f64 v[9:10], v[9:10], v[26:27]
	v_add_f64 v[18:19], v[18:19], -v[33:34]
	v_add_f64 v[9:10], v[13:14], v[9:10]
	v_add_f64 v[13:14], v[20:21], -v[16:17]
	v_add_f64 v[24:25], v[22:23], v[18:19]
	v_add_f64 v[3:4], v[3:4], v[9:10]
	v_add_f64 v[9:10], v[24:25], -v[18:19]
	v_cmp_le_f64_e32 vcc_lo, 0.5, v[24:25]
	v_add_f64 v[3:4], v[13:14], v[3:4]
	v_add_f64 v[9:10], v[22:23], -v[9:10]
	v_cndmask_b32_e64 v33, 0, 0x3ff00000, vcc_lo
	v_add_co_ci_u32_e64 v13, null, 0, v35, vcc_lo
	v_add_f64 v[3:4], v[3:4], v[9:10]
	v_add_f64 v[9:10], v[24:25], -v[32:33]
	v_add_f64 v[16:17], v[9:10], v[3:4]
	v_mul_f64 v[18:19], v[16:17], s[12:13]
	v_add_f64 v[9:10], v[16:17], -v[9:10]
	v_fma_f64 v[20:21], v[16:17], s[12:13], -v[18:19]
	v_add_f64 v[3:4], v[3:4], -v[9:10]
	v_fma_f64 v[9:10], v[16:17], s[14:15], v[20:21]
	v_fma_f64 v[9:10], v[3:4], s[12:13], v[9:10]
	v_add_f64 v[3:4], v[18:19], v[9:10]
	v_add_f64 v[16:17], v[3:4], -v[18:19]
	v_add_f64 v[9:10], v[9:10], -v[16:17]
.LBB3_15:
	s_andn2_saveexec_b32 s0, s0
	s_cbranch_execz .LBB3_17
; %bb.16:
	s_mov_b32 s12, 0x6dc9c883
	s_mov_b32 s13, 0x3fe45f30
	;; [unrolled: 1-line block ×3, first 2 shown]
	v_mul_f64 v[3:4], |v[11:12]|, s[12:13]
	s_mov_b32 s12, 0x54442d18
	s_mov_b32 s13, 0xbff921fb
	;; [unrolled: 1-line block ×3, first 2 shown]
	v_rndne_f64_e32 v[13:14], v[3:4]
	v_fma_f64 v[3:4], v[13:14], s[12:13], |v[11:12]|
	v_mul_f64 v[9:10], v[13:14], s[14:15]
	s_mov_b32 s12, 0x252049c0
	s_mov_b32 s13, 0xb97b839a
	v_fma_f64 v[18:19], v[13:14], s[14:15], v[3:4]
	v_add_f64 v[16:17], v[3:4], v[9:10]
	s_mov_b32 s15, 0x3c91a626
	v_add_f64 v[3:4], v[3:4], -v[16:17]
	v_add_f64 v[16:17], v[16:17], -v[18:19]
	v_add_f64 v[3:4], v[3:4], v[9:10]
	v_fma_f64 v[9:10], v[13:14], s[14:15], v[9:10]
	v_add_f64 v[3:4], v[16:17], v[3:4]
	v_add_f64 v[3:4], v[3:4], -v[9:10]
	v_fma_f64 v[9:10], v[13:14], s[12:13], v[3:4]
	v_cvt_i32_f64_e32 v13, v[13:14]
	v_add_f64 v[3:4], v[18:19], v[9:10]
	v_add_f64 v[16:17], v[3:4], -v[18:19]
	v_add_f64 v[9:10], v[9:10], -v[16:17]
.LBB3_17:
	s_or_b32 exec_lo, exec_lo, s0
	v_mul_f64 v[16:17], v[3:4], v[3:4]
	s_mov_b32 s12, 0xb42fdfa7
	s_mov_b32 s14, 0xf9a43bb8
	;; [unrolled: 1-line block ×6, first 2 shown]
	v_mul_f64 v[26:27], v[9:10], 0.5
	v_cmp_class_f64_e64 s0, v[11:12], 0x1f8
	v_fma_f64 v[18:19], v[16:17], s[14:15], s[12:13]
	s_mov_b32 s12, 0x9037ab78
	s_mov_b32 s14, 0x46cc5e42
	;; [unrolled: 1-line block ×4, first 2 shown]
	v_mul_f64 v[22:23], v[16:17], 0.5
	v_fma_f64 v[20:21], v[16:17], s[14:15], s[12:13]
	s_mov_b32 s12, 0xa17f65f6
	s_mov_b32 s14, 0x19e83e5c
	;; [unrolled: 1-line block ×4, first 2 shown]
	v_mul_f64 v[28:29], v[3:4], -v[16:17]
	v_fma_f64 v[18:19], v[16:17], v[18:19], s[16:17]
	v_add_f64 v[24:25], -v[22:23], 1.0
	v_fma_f64 v[20:21], v[16:17], v[20:21], s[12:13]
	s_mov_b32 s12, 0x19f4ec90
	s_mov_b32 s13, 0x3efa01a0
	v_fma_f64 v[18:19], v[16:17], v[18:19], s[14:15]
	s_mov_b32 s14, 0x11110bb3
	s_mov_b32 s15, 0x3f811111
	v_add_f64 v[30:31], -v[24:25], 1.0
	v_fma_f64 v[20:21], v[16:17], v[20:21], s[12:13]
	s_mov_b32 s12, 0x16c16967
	s_mov_b32 s13, 0xbf56c16c
	v_fma_f64 v[18:19], v[16:17], v[18:19], s[14:15]
	v_add_f64 v[22:23], v[30:31], -v[22:23]
	v_fma_f64 v[20:21], v[16:17], v[20:21], s[12:13]
	s_mov_b32 s13, 0x3fa55555
	s_mov_b32 s12, 0x55555555
	v_fma_f64 v[18:19], v[28:29], v[18:19], v[26:27]
	v_mul_f64 v[26:27], v[16:17], v[16:17]
	v_fma_f64 v[22:23], v[3:4], -v[9:10], v[22:23]
	v_fma_f64 v[20:21], v[16:17], v[20:21], s[12:13]
	s_mov_b32 s13, 0xbfc55555
	v_fma_f64 v[9:10], v[16:17], v[18:19], -v[9:10]
	v_fma_f64 v[16:17], v[26:27], v[20:21], v[22:23]
	v_fma_f64 v[9:10], v[28:29], s[12:13], v[9:10]
	v_add_f64 v[16:17], v[24:25], v[16:17]
	v_add_f64 v[3:4], v[3:4], -v[9:10]
	v_and_b32_e32 v9, 1, v13
	v_cmp_eq_u32_e32 vcc_lo, 0, v9
	v_lshlrev_b32_e32 v9, 30, v13
	v_xor_b32_e32 v9, v9, v12
	v_and_b32_e32 v9, 0x80000000, v9
	v_cndmask_b32_e32 v4, v17, v4, vcc_lo
	v_cndmask_b32_e32 v3, v16, v3, vcc_lo
	v_xor_b32_e32 v4, v4, v9
	v_cndmask_b32_e64 v3, 0, v3, s0
	v_cndmask_b32_e64 v4, 0x7ff80000, v4, s0
	v_div_scale_f64 v[9:10], null, v[11:12], v[11:12], v[3:4]
	v_rcp_f64_e32 v[13:14], v[9:10]
	v_fma_f64 v[16:17], -v[9:10], v[13:14], 1.0
	v_fma_f64 v[13:14], v[13:14], v[16:17], v[13:14]
	v_fma_f64 v[16:17], -v[9:10], v[13:14], 1.0
	v_fma_f64 v[13:14], v[13:14], v[16:17], v[13:14]
	v_div_scale_f64 v[16:17], vcc_lo, v[3:4], v[11:12], v[3:4]
	v_mul_f64 v[18:19], v[16:17], v[13:14]
	v_fma_f64 v[9:10], -v[9:10], v[18:19], v[16:17]
	v_div_fmas_f64 v[9:10], v[9:10], v[13:14], v[18:19]
	v_div_fixup_f64 v[3:4], v[9:10], v[11:12], v[3:4]
                                        ; implicit-def: $vgpr11_vgpr12
.LBB3_18:
	s_andn2_saveexec_b32 s0, s3
	s_cbranch_execz .LBB3_20
; %bb.19:
	v_mul_f64 v[3:4], v[11:12], v[11:12]
	s_mov_b32 s12, 0x67f544e4
	s_mov_b32 s14, 0x13a86d09
	;; [unrolled: 1-line block ×4, first 2 shown]
	v_fma_f64 v[9:10], v[3:4], s[14:15], s[12:13]
	s_mov_b32 s12, 0xa556c734
	s_mov_b32 s13, 0x3ec71de3
	v_fma_f64 v[9:10], v[3:4], v[9:10], s[12:13]
	s_mov_b32 s12, 0x1a01a01a
	s_mov_b32 s13, 0xbf2a01a0
	;; [unrolled: 3-line block ×4, first 2 shown]
	v_fma_f64 v[9:10], v[3:4], v[9:10], s[12:13]
	v_fma_f64 v[3:4], v[3:4], v[9:10], 1.0
.LBB3_20:
	s_or_b32 exec_lo, exec_lo, s0
.LBB3_21:
	s_or_b32 exec_lo, exec_lo, s1
	v_mov_b32_e32 v11, 0
	v_mov_b32_e32 v9, 0
	;; [unrolled: 1-line block ×4, first 2 shown]
	s_mov_b32 s1, exec_lo
	s_waitcnt vmcnt(0)
	v_cmpx_neq_f64_e64 0x7ff00000, |v[5:6]|
	s_cbranch_execz .LBB3_31
; %bb.22:
	s_mov_b32 s3, exec_lo
	v_cmpx_nlt_f64_e64 |v[5:6]|, 0.5
	s_xor_b32 s3, exec_lo, s3
	s_cbranch_execz .LBB3_28
; %bb.23:
	v_cmp_ngt_f64_e64 s0, 0x41d00000, |v[5:6]|
                                        ; implicit-def: $vgpr16
                                        ; implicit-def: $vgpr9_vgpr10
                                        ; implicit-def: $vgpr13_vgpr14
	s_and_saveexec_b32 s7, s0
	s_xor_b32 s0, exec_lo, s7
	s_cbranch_execz .LBB3_25
; %bb.24:
	v_ldexp_f64 v[9:10], |v[5:6]|, 0xffffff80
	v_cmp_le_f64_e64 vcc_lo, 0x7b000000, |v[5:6]|
	v_trig_preop_f64 v[13:14], |v[5:6]|, 0
	v_and_b32_e32 v16, 0x7fffffff, v6
	v_trig_preop_f64 v[26:27], |v[5:6]|, 2
	v_mov_b32_e32 v34, 0
	s_mov_b32 s12, 0x54442d18
	s_mov_b32 s13, 0x3ff921fb
	;; [unrolled: 1-line block ×4, first 2 shown]
	v_cndmask_b32_e32 v10, v16, v10, vcc_lo
	v_cndmask_b32_e32 v9, v5, v9, vcc_lo
	v_trig_preop_f64 v[16:17], |v[5:6]|, 1
	v_mul_f64 v[18:19], v[13:14], v[9:10]
	v_mul_f64 v[32:33], v[26:27], v[9:10]
	;; [unrolled: 1-line block ×3, first 2 shown]
	v_fma_f64 v[13:14], v[13:14], v[9:10], -v[18:19]
	v_fma_f64 v[16:17], v[16:17], v[9:10], -v[20:21]
	;; [unrolled: 1-line block ×3, first 2 shown]
	v_add_f64 v[22:23], v[20:21], v[13:14]
	v_add_f64 v[24:25], v[22:23], -v[20:21]
	v_add_f64 v[30:31], v[18:19], v[22:23]
	v_add_f64 v[28:29], v[22:23], -v[24:25]
	v_add_f64 v[13:14], v[13:14], -v[24:25]
	v_ldexp_f64 v[24:25], v[30:31], -2
	v_add_f64 v[18:19], v[30:31], -v[18:19]
	v_add_f64 v[20:21], v[20:21], -v[28:29]
	v_add_f64 v[28:29], v[32:33], v[16:17]
	v_cmp_neq_f64_e64 vcc_lo, 0x7ff00000, |v[24:25]|
	v_add_f64 v[18:19], v[22:23], -v[18:19]
	v_add_f64 v[13:14], v[13:14], v[20:21]
	v_fract_f64_e32 v[20:21], v[24:25]
	v_add_f64 v[22:23], v[28:29], v[13:14]
	v_ldexp_f64 v[20:21], v[20:21], 2
	v_add_f64 v[24:25], v[18:19], v[22:23]
	v_cndmask_b32_e32 v21, 0, v21, vcc_lo
	v_cndmask_b32_e32 v20, 0, v20, vcc_lo
	v_add_f64 v[30:31], v[24:25], v[20:21]
	v_add_f64 v[18:19], v[24:25], -v[18:19]
	v_cmp_gt_f64_e32 vcc_lo, 0, v[30:31]
	v_add_f64 v[30:31], v[28:29], -v[32:33]
	v_cndmask_b32_e64 v35, 0, 0x40100000, vcc_lo
	v_add_f64 v[39:40], v[28:29], -v[30:31]
	v_add_f64 v[16:17], v[16:17], -v[30:31]
	v_add_f64 v[20:21], v[20:21], v[34:35]
	v_add_f64 v[35:36], v[22:23], -v[28:29]
	v_add_f64 v[30:31], v[32:33], -v[39:40]
	v_add_f64 v[37:38], v[24:25], v[20:21]
	;; [unrolled: 3-line block ×3, first 2 shown]
	v_cvt_i32_f64_e32 v37, v[37:38]
	v_add_f64 v[28:29], v[28:29], -v[41:42]
	v_cvt_f64_i32_e32 v[35:36], v37
	v_add_f64 v[13:14], v[13:14], v[28:29]
	v_add_f64 v[20:21], v[20:21], -v[35:36]
	v_add_f64 v[13:14], v[16:17], v[13:14]
	v_add_f64 v[16:17], v[22:23], -v[18:19]
	v_add_f64 v[26:27], v[24:25], v[20:21]
	v_add_f64 v[9:10], v[9:10], v[13:14]
	v_add_f64 v[13:14], v[26:27], -v[20:21]
	v_cmp_le_f64_e32 vcc_lo, 0.5, v[26:27]
	v_add_f64 v[9:10], v[16:17], v[9:10]
	v_add_f64 v[13:14], v[24:25], -v[13:14]
	v_cndmask_b32_e64 v35, 0, 0x3ff00000, vcc_lo
	v_add_co_ci_u32_e64 v16, null, 0, v37, vcc_lo
	v_add_f64 v[9:10], v[9:10], v[13:14]
	v_add_f64 v[13:14], v[26:27], -v[34:35]
	v_add_f64 v[17:18], v[13:14], v[9:10]
	v_mul_f64 v[19:20], v[17:18], s[12:13]
	v_add_f64 v[13:14], v[17:18], -v[13:14]
	v_fma_f64 v[21:22], v[17:18], s[12:13], -v[19:20]
	v_add_f64 v[9:10], v[9:10], -v[13:14]
	v_fma_f64 v[13:14], v[17:18], s[14:15], v[21:22]
	v_fma_f64 v[13:14], v[9:10], s[12:13], v[13:14]
	v_add_f64 v[9:10], v[19:20], v[13:14]
	v_add_f64 v[17:18], v[9:10], -v[19:20]
	v_add_f64 v[13:14], v[13:14], -v[17:18]
.LBB3_25:
	s_andn2_saveexec_b32 s0, s0
	s_cbranch_execz .LBB3_27
; %bb.26:
	s_mov_b32 s12, 0x6dc9c883
	s_mov_b32 s13, 0x3fe45f30
	;; [unrolled: 1-line block ×3, first 2 shown]
	v_mul_f64 v[9:10], |v[5:6]|, s[12:13]
	s_mov_b32 s12, 0x54442d18
	s_mov_b32 s13, 0xbff921fb
	s_mov_b32 s14, 0x33145c00
	v_rndne_f64_e32 v[16:17], v[9:10]
	v_fma_f64 v[9:10], v[16:17], s[12:13], |v[5:6]|
	v_mul_f64 v[13:14], v[16:17], s[14:15]
	s_mov_b32 s12, 0x252049c0
	s_mov_b32 s13, 0xb97b839a
	v_fma_f64 v[20:21], v[16:17], s[14:15], v[9:10]
	v_add_f64 v[18:19], v[9:10], v[13:14]
	s_mov_b32 s15, 0x3c91a626
	v_add_f64 v[9:10], v[9:10], -v[18:19]
	v_add_f64 v[18:19], v[18:19], -v[20:21]
	v_add_f64 v[9:10], v[9:10], v[13:14]
	v_fma_f64 v[13:14], v[16:17], s[14:15], v[13:14]
	v_add_f64 v[9:10], v[18:19], v[9:10]
	v_add_f64 v[9:10], v[9:10], -v[13:14]
	v_fma_f64 v[13:14], v[16:17], s[12:13], v[9:10]
	v_cvt_i32_f64_e32 v16, v[16:17]
	v_add_f64 v[9:10], v[20:21], v[13:14]
	v_add_f64 v[18:19], v[9:10], -v[20:21]
	v_add_f64 v[13:14], v[13:14], -v[18:19]
.LBB3_27:
	s_or_b32 exec_lo, exec_lo, s0
	v_mul_f64 v[17:18], v[9:10], v[9:10]
	s_mov_b32 s12, 0xb42fdfa7
	s_mov_b32 s14, 0xf9a43bb8
	;; [unrolled: 1-line block ×6, first 2 shown]
	v_mul_f64 v[27:28], v[13:14], 0.5
	v_cmp_class_f64_e64 s0, v[5:6], 0x1f8
	v_fma_f64 v[19:20], v[17:18], s[14:15], s[12:13]
	s_mov_b32 s12, 0x9037ab78
	s_mov_b32 s14, 0x46cc5e42
	s_mov_b32 s13, 0x3e21eeb6
	s_mov_b32 s15, 0xbda907db
	v_mul_f64 v[23:24], v[17:18], 0.5
	v_fma_f64 v[21:22], v[17:18], s[14:15], s[12:13]
	s_mov_b32 s12, 0xa17f65f6
	s_mov_b32 s14, 0x19e83e5c
	;; [unrolled: 1-line block ×4, first 2 shown]
	v_mul_f64 v[29:30], v[9:10], -v[17:18]
	v_fma_f64 v[19:20], v[17:18], v[19:20], s[16:17]
	v_add_f64 v[25:26], -v[23:24], 1.0
	v_fma_f64 v[21:22], v[17:18], v[21:22], s[12:13]
	s_mov_b32 s12, 0x19f4ec90
	s_mov_b32 s13, 0x3efa01a0
	v_fma_f64 v[19:20], v[17:18], v[19:20], s[14:15]
	s_mov_b32 s14, 0x11110bb3
	s_mov_b32 s15, 0x3f811111
	v_add_f64 v[31:32], -v[25:26], 1.0
	v_fma_f64 v[21:22], v[17:18], v[21:22], s[12:13]
	s_mov_b32 s12, 0x16c16967
	s_mov_b32 s13, 0xbf56c16c
	v_fma_f64 v[19:20], v[17:18], v[19:20], s[14:15]
	v_add_f64 v[23:24], v[31:32], -v[23:24]
	v_fma_f64 v[21:22], v[17:18], v[21:22], s[12:13]
	s_mov_b32 s13, 0x3fa55555
	s_mov_b32 s12, 0x55555555
	v_fma_f64 v[19:20], v[29:30], v[19:20], v[27:28]
	v_mul_f64 v[27:28], v[17:18], v[17:18]
	v_fma_f64 v[23:24], v[9:10], -v[13:14], v[23:24]
	v_fma_f64 v[21:22], v[17:18], v[21:22], s[12:13]
	s_mov_b32 s13, 0xbfc55555
	v_fma_f64 v[13:14], v[17:18], v[19:20], -v[13:14]
	v_fma_f64 v[17:18], v[27:28], v[21:22], v[23:24]
	v_fma_f64 v[13:14], v[29:30], s[12:13], v[13:14]
	v_add_f64 v[17:18], v[25:26], v[17:18]
	v_add_f64 v[9:10], v[9:10], -v[13:14]
	v_and_b32_e32 v13, 1, v16
	v_cmp_eq_u32_e32 vcc_lo, 0, v13
	v_lshlrev_b32_e32 v13, 30, v16
	v_xor_b32_e32 v13, v13, v6
	v_and_b32_e32 v13, 0x80000000, v13
	v_cndmask_b32_e32 v10, v18, v10, vcc_lo
	v_cndmask_b32_e32 v9, v17, v9, vcc_lo
	v_xor_b32_e32 v10, v10, v13
	v_cndmask_b32_e64 v9, 0, v9, s0
	v_cndmask_b32_e64 v10, 0x7ff80000, v10, s0
	v_div_scale_f64 v[13:14], null, v[5:6], v[5:6], v[9:10]
	v_rcp_f64_e32 v[16:17], v[13:14]
	v_fma_f64 v[18:19], -v[13:14], v[16:17], 1.0
	v_fma_f64 v[16:17], v[16:17], v[18:19], v[16:17]
	v_fma_f64 v[18:19], -v[13:14], v[16:17], 1.0
	v_fma_f64 v[16:17], v[16:17], v[18:19], v[16:17]
	v_div_scale_f64 v[18:19], vcc_lo, v[9:10], v[5:6], v[9:10]
	v_mul_f64 v[20:21], v[18:19], v[16:17]
	v_fma_f64 v[13:14], -v[13:14], v[20:21], v[18:19]
	v_div_fmas_f64 v[13:14], v[13:14], v[16:17], v[20:21]
	v_div_fixup_f64 v[9:10], v[13:14], v[5:6], v[9:10]
.LBB3_28:
	s_andn2_saveexec_b32 s0, s3
	s_cbranch_execz .LBB3_30
; %bb.29:
	v_mul_f64 v[5:6], v[5:6], v[5:6]
	s_mov_b32 s12, 0x67f544e4
	s_mov_b32 s14, 0x13a86d09
	;; [unrolled: 1-line block ×4, first 2 shown]
	v_fma_f64 v[9:10], v[5:6], s[14:15], s[12:13]
	s_mov_b32 s12, 0xa556c734
	s_mov_b32 s13, 0x3ec71de3
	v_fma_f64 v[9:10], v[5:6], v[9:10], s[12:13]
	s_mov_b32 s12, 0x1a01a01a
	s_mov_b32 s13, 0xbf2a01a0
	;; [unrolled: 3-line block ×4, first 2 shown]
	v_fma_f64 v[9:10], v[5:6], v[9:10], s[12:13]
	v_fma_f64 v[9:10], v[5:6], v[9:10], 1.0
.LBB3_30:
	s_or_b32 exec_lo, exec_lo, s0
.LBB3_31:
	s_or_b32 exec_lo, exec_lo, s1
	s_mov_b32 s1, exec_lo
	v_cmpx_neq_f64_e64 0x7ff00000, |v[7:8]|
	s_cbranch_execz .LBB3_41
; %bb.32:
	s_mov_b32 s3, exec_lo
	v_cmpx_nlt_f64_e64 |v[7:8]|, 0.5
	s_xor_b32 s3, exec_lo, s3
	s_cbranch_execz .LBB3_38
; %bb.33:
	v_cmp_ngt_f64_e64 s0, 0x41d00000, |v[7:8]|
                                        ; implicit-def: $vgpr13
                                        ; implicit-def: $vgpr5_vgpr6
                                        ; implicit-def: $vgpr11_vgpr12
	s_and_saveexec_b32 s7, s0
	s_xor_b32 s0, exec_lo, s7
	s_cbranch_execz .LBB3_35
; %bb.34:
	v_ldexp_f64 v[5:6], |v[7:8]|, 0xffffff80
	v_cmp_le_f64_e64 vcc_lo, 0x7b000000, |v[7:8]|
	v_trig_preop_f64 v[11:12], |v[7:8]|, 0
	v_and_b32_e32 v13, 0x7fffffff, v8
	v_trig_preop_f64 v[24:25], |v[7:8]|, 2
	v_mov_b32_e32 v32, 0
	s_mov_b32 s12, 0x54442d18
	s_mov_b32 s13, 0x3ff921fb
	;; [unrolled: 1-line block ×4, first 2 shown]
	v_cndmask_b32_e32 v6, v13, v6, vcc_lo
	v_cndmask_b32_e32 v5, v7, v5, vcc_lo
	v_trig_preop_f64 v[13:14], |v[7:8]|, 1
	v_mul_f64 v[16:17], v[11:12], v[5:6]
	v_mul_f64 v[30:31], v[24:25], v[5:6]
	;; [unrolled: 1-line block ×3, first 2 shown]
	v_fma_f64 v[11:12], v[11:12], v[5:6], -v[16:17]
	v_fma_f64 v[13:14], v[13:14], v[5:6], -v[18:19]
	;; [unrolled: 1-line block ×3, first 2 shown]
	v_add_f64 v[20:21], v[18:19], v[11:12]
	v_add_f64 v[22:23], v[20:21], -v[18:19]
	v_add_f64 v[28:29], v[16:17], v[20:21]
	v_add_f64 v[26:27], v[20:21], -v[22:23]
	v_add_f64 v[11:12], v[11:12], -v[22:23]
	v_ldexp_f64 v[22:23], v[28:29], -2
	v_add_f64 v[16:17], v[28:29], -v[16:17]
	v_add_f64 v[18:19], v[18:19], -v[26:27]
	v_add_f64 v[26:27], v[30:31], v[13:14]
	v_cmp_neq_f64_e64 vcc_lo, 0x7ff00000, |v[22:23]|
	v_add_f64 v[16:17], v[20:21], -v[16:17]
	v_add_f64 v[11:12], v[11:12], v[18:19]
	v_fract_f64_e32 v[18:19], v[22:23]
	v_add_f64 v[20:21], v[26:27], v[11:12]
	v_ldexp_f64 v[18:19], v[18:19], 2
	v_add_f64 v[22:23], v[16:17], v[20:21]
	v_cndmask_b32_e32 v19, 0, v19, vcc_lo
	v_cndmask_b32_e32 v18, 0, v18, vcc_lo
	v_add_f64 v[28:29], v[22:23], v[18:19]
	v_add_f64 v[16:17], v[22:23], -v[16:17]
	v_cmp_gt_f64_e32 vcc_lo, 0, v[28:29]
	v_add_f64 v[28:29], v[26:27], -v[30:31]
	v_cndmask_b32_e64 v33, 0, 0x40100000, vcc_lo
	v_add_f64 v[37:38], v[26:27], -v[28:29]
	v_add_f64 v[13:14], v[13:14], -v[28:29]
	v_add_f64 v[18:19], v[18:19], v[32:33]
	v_add_f64 v[33:34], v[20:21], -v[26:27]
	v_add_f64 v[28:29], v[30:31], -v[37:38]
	v_add_f64 v[35:36], v[22:23], v[18:19]
	;; [unrolled: 3-line block ×3, first 2 shown]
	v_cvt_i32_f64_e32 v35, v[35:36]
	v_add_f64 v[26:27], v[26:27], -v[39:40]
	v_cvt_f64_i32_e32 v[33:34], v35
	v_add_f64 v[11:12], v[11:12], v[26:27]
	v_add_f64 v[18:19], v[18:19], -v[33:34]
	v_add_f64 v[11:12], v[13:14], v[11:12]
	v_add_f64 v[13:14], v[20:21], -v[16:17]
	v_add_f64 v[24:25], v[22:23], v[18:19]
	v_add_f64 v[5:6], v[5:6], v[11:12]
	v_add_f64 v[11:12], v[24:25], -v[18:19]
	v_cmp_le_f64_e32 vcc_lo, 0.5, v[24:25]
	v_add_f64 v[5:6], v[13:14], v[5:6]
	v_add_f64 v[11:12], v[22:23], -v[11:12]
	v_cndmask_b32_e64 v33, 0, 0x3ff00000, vcc_lo
	v_add_co_ci_u32_e64 v13, null, 0, v35, vcc_lo
	v_add_f64 v[5:6], v[5:6], v[11:12]
	v_add_f64 v[11:12], v[24:25], -v[32:33]
	v_add_f64 v[16:17], v[11:12], v[5:6]
	v_mul_f64 v[18:19], v[16:17], s[12:13]
	v_add_f64 v[11:12], v[16:17], -v[11:12]
	v_fma_f64 v[20:21], v[16:17], s[12:13], -v[18:19]
	v_add_f64 v[5:6], v[5:6], -v[11:12]
	v_fma_f64 v[11:12], v[16:17], s[14:15], v[20:21]
	v_fma_f64 v[11:12], v[5:6], s[12:13], v[11:12]
	v_add_f64 v[5:6], v[18:19], v[11:12]
	v_add_f64 v[16:17], v[5:6], -v[18:19]
	v_add_f64 v[11:12], v[11:12], -v[16:17]
.LBB3_35:
	s_andn2_saveexec_b32 s0, s0
	s_cbranch_execz .LBB3_37
; %bb.36:
	s_mov_b32 s12, 0x6dc9c883
	s_mov_b32 s13, 0x3fe45f30
	;; [unrolled: 1-line block ×3, first 2 shown]
	v_mul_f64 v[5:6], |v[7:8]|, s[12:13]
	s_mov_b32 s12, 0x54442d18
	s_mov_b32 s13, 0xbff921fb
	;; [unrolled: 1-line block ×3, first 2 shown]
	v_rndne_f64_e32 v[13:14], v[5:6]
	v_fma_f64 v[5:6], v[13:14], s[12:13], |v[7:8]|
	v_mul_f64 v[11:12], v[13:14], s[14:15]
	s_mov_b32 s12, 0x252049c0
	s_mov_b32 s13, 0xb97b839a
	v_fma_f64 v[18:19], v[13:14], s[14:15], v[5:6]
	v_add_f64 v[16:17], v[5:6], v[11:12]
	s_mov_b32 s15, 0x3c91a626
	v_add_f64 v[5:6], v[5:6], -v[16:17]
	v_add_f64 v[16:17], v[16:17], -v[18:19]
	v_add_f64 v[5:6], v[5:6], v[11:12]
	v_fma_f64 v[11:12], v[13:14], s[14:15], v[11:12]
	v_add_f64 v[5:6], v[16:17], v[5:6]
	v_add_f64 v[5:6], v[5:6], -v[11:12]
	v_fma_f64 v[11:12], v[13:14], s[12:13], v[5:6]
	v_cvt_i32_f64_e32 v13, v[13:14]
	v_add_f64 v[5:6], v[18:19], v[11:12]
	v_add_f64 v[16:17], v[5:6], -v[18:19]
	v_add_f64 v[11:12], v[11:12], -v[16:17]
.LBB3_37:
	s_or_b32 exec_lo, exec_lo, s0
	v_mul_f64 v[16:17], v[5:6], v[5:6]
	s_mov_b32 s12, 0xb42fdfa7
	s_mov_b32 s14, 0xf9a43bb8
	;; [unrolled: 1-line block ×6, first 2 shown]
	v_mul_f64 v[26:27], v[11:12], 0.5
	v_cmp_class_f64_e64 s0, v[7:8], 0x1f8
	v_fma_f64 v[18:19], v[16:17], s[14:15], s[12:13]
	s_mov_b32 s12, 0x9037ab78
	s_mov_b32 s14, 0x46cc5e42
	;; [unrolled: 1-line block ×4, first 2 shown]
	v_mul_f64 v[22:23], v[16:17], 0.5
	v_fma_f64 v[20:21], v[16:17], s[14:15], s[12:13]
	s_mov_b32 s12, 0xa17f65f6
	s_mov_b32 s14, 0x19e83e5c
	;; [unrolled: 1-line block ×4, first 2 shown]
	v_mul_f64 v[28:29], v[5:6], -v[16:17]
	v_fma_f64 v[18:19], v[16:17], v[18:19], s[16:17]
	v_add_f64 v[24:25], -v[22:23], 1.0
	v_fma_f64 v[20:21], v[16:17], v[20:21], s[12:13]
	s_mov_b32 s12, 0x19f4ec90
	s_mov_b32 s13, 0x3efa01a0
	v_fma_f64 v[18:19], v[16:17], v[18:19], s[14:15]
	s_mov_b32 s14, 0x11110bb3
	s_mov_b32 s15, 0x3f811111
	v_add_f64 v[30:31], -v[24:25], 1.0
	v_fma_f64 v[20:21], v[16:17], v[20:21], s[12:13]
	s_mov_b32 s12, 0x16c16967
	s_mov_b32 s13, 0xbf56c16c
	v_fma_f64 v[18:19], v[16:17], v[18:19], s[14:15]
	v_add_f64 v[22:23], v[30:31], -v[22:23]
	v_fma_f64 v[20:21], v[16:17], v[20:21], s[12:13]
	s_mov_b32 s13, 0x3fa55555
	s_mov_b32 s12, 0x55555555
	v_fma_f64 v[18:19], v[28:29], v[18:19], v[26:27]
	v_mul_f64 v[26:27], v[16:17], v[16:17]
	v_fma_f64 v[22:23], v[5:6], -v[11:12], v[22:23]
	v_fma_f64 v[20:21], v[16:17], v[20:21], s[12:13]
	s_mov_b32 s13, 0xbfc55555
	v_fma_f64 v[11:12], v[16:17], v[18:19], -v[11:12]
	v_fma_f64 v[16:17], v[26:27], v[20:21], v[22:23]
	v_fma_f64 v[11:12], v[28:29], s[12:13], v[11:12]
	v_add_f64 v[16:17], v[24:25], v[16:17]
	v_add_f64 v[5:6], v[5:6], -v[11:12]
	v_and_b32_e32 v11, 1, v13
	v_cmp_eq_u32_e32 vcc_lo, 0, v11
	v_lshlrev_b32_e32 v11, 30, v13
	v_xor_b32_e32 v11, v11, v8
	v_and_b32_e32 v11, 0x80000000, v11
	v_cndmask_b32_e32 v6, v17, v6, vcc_lo
	v_cndmask_b32_e32 v5, v16, v5, vcc_lo
	v_xor_b32_e32 v6, v6, v11
	v_cndmask_b32_e64 v5, 0, v5, s0
	v_cndmask_b32_e64 v6, 0x7ff80000, v6, s0
	v_div_scale_f64 v[11:12], null, v[7:8], v[7:8], v[5:6]
	v_rcp_f64_e32 v[13:14], v[11:12]
	v_fma_f64 v[16:17], -v[11:12], v[13:14], 1.0
	v_fma_f64 v[13:14], v[13:14], v[16:17], v[13:14]
	v_fma_f64 v[16:17], -v[11:12], v[13:14], 1.0
	v_fma_f64 v[13:14], v[13:14], v[16:17], v[13:14]
	v_div_scale_f64 v[16:17], vcc_lo, v[5:6], v[7:8], v[5:6]
	v_mul_f64 v[18:19], v[16:17], v[13:14]
	v_fma_f64 v[11:12], -v[11:12], v[18:19], v[16:17]
	v_div_fmas_f64 v[11:12], v[11:12], v[13:14], v[18:19]
	v_div_fixup_f64 v[11:12], v[11:12], v[7:8], v[5:6]
                                        ; implicit-def: $vgpr7_vgpr8
.LBB3_38:
	s_andn2_saveexec_b32 s0, s3
	s_cbranch_execz .LBB3_40
; %bb.39:
	v_mul_f64 v[5:6], v[7:8], v[7:8]
	s_mov_b32 s12, 0x67f544e4
	s_mov_b32 s14, 0x13a86d09
	s_mov_b32 s13, 0xbe5ae645
	s_mov_b32 s15, 0x3de61246
	v_fma_f64 v[7:8], v[5:6], s[14:15], s[12:13]
	s_mov_b32 s12, 0xa556c734
	s_mov_b32 s13, 0x3ec71de3
	v_fma_f64 v[7:8], v[5:6], v[7:8], s[12:13]
	s_mov_b32 s12, 0x1a01a01a
	s_mov_b32 s13, 0xbf2a01a0
	;; [unrolled: 3-line block ×4, first 2 shown]
	v_fma_f64 v[7:8], v[5:6], v[7:8], s[12:13]
	v_fma_f64 v[11:12], v[5:6], v[7:8], 1.0
.LBB3_40:
	s_or_b32 exec_lo, exec_lo, s0
.LBB3_41:
	s_or_b32 exec_lo, exec_lo, s1
	s_add_u32 s0, s8, s4
	s_addc_u32 s1, s9, s5
	v_add_co_u32 v5, s3, s0, v15
	v_add_co_ci_u32_e64 v6, null, s1, 0, s3
	global_store_dwordx4 v15, v[1:4], s[0:1]
	v_add_co_u32 v5, vcc_lo, 0x1000, v5
	v_add_co_ci_u32_e64 v6, null, 0, v6, vcc_lo
	s_mov_b32 s0, 0
	global_store_dwordx4 v[5:6], v[9:12], off
.LBB3_42:
	s_and_b32 vcc_lo, exec_lo, s0
	s_cbranch_vccz .LBB3_93
; %bb.43:
	v_mov_b32_e32 v14, 0
	v_mov_b32_e32 v16, 0
	v_cmp_gt_i32_e64 s0, s6, v0
	v_mov_b32_e32 v15, 0
	v_or_b32_e32 v1, s2, v0
	v_or_b32_e32 v18, 0x100, v0
	v_mov_b32_e32 v17, 0
	v_mov_b32_e32 v4, v0
	s_and_saveexec_b32 s1, s0
	s_cbranch_execz .LBB3_45
; %bb.44:
	v_mov_b32_e32 v2, 0
	v_or_b32_e32 v4, 0x100, v0
	v_lshlrev_b64 v[2:3], 3, v[1:2]
	v_add_co_u32 v2, vcc_lo, s10, v2
	v_add_co_ci_u32_e64 v3, null, s11, v3, vcc_lo
	global_load_dwordx2 v[16:17], v[2:3], off
.LBB3_45:
	s_or_b32 exec_lo, exec_lo, s1
	s_mov_b32 s1, exec_lo
	v_cmpx_gt_i32_e64 s6, v4
	s_cbranch_execz .LBB3_47
; %bb.46:
	v_add_nc_u32_e32 v2, s2, v4
	v_mov_b32_e32 v3, 0
	v_add_nc_u32_e32 v4, 0x100, v4
	v_lshlrev_b64 v[2:3], 3, v[2:3]
	v_add_co_u32 v2, vcc_lo, s10, v2
	v_add_co_ci_u32_e64 v3, null, s11, v3, vcc_lo
	global_load_dwordx2 v[14:15], v[2:3], off
.LBB3_47:
	s_or_b32 exec_lo, exec_lo, s1
	v_mov_b32_e32 v2, 0
	v_mov_b32_e32 v6, 0
	;; [unrolled: 1-line block ×4, first 2 shown]
	s_mov_b32 s1, exec_lo
	v_cmpx_gt_i32_e64 s6, v4
	s_cbranch_execz .LBB3_49
; %bb.48:
	v_add_nc_u32_e32 v5, s2, v4
	v_mov_b32_e32 v6, 0
	v_add_nc_u32_e32 v4, 0x100, v4
	v_lshlrev_b64 v[5:6], 3, v[5:6]
	v_add_co_u32 v5, vcc_lo, s10, v5
	v_add_co_ci_u32_e64 v6, null, s11, v6, vcc_lo
	global_load_dwordx2 v[6:7], v[5:6], off
.LBB3_49:
	s_or_b32 exec_lo, exec_lo, s1
	s_mov_b32 s1, exec_lo
	v_cmpx_gt_i32_e64 s6, v4
	s_cbranch_execz .LBB3_51
; %bb.50:
	v_add_nc_u32_e32 v2, s2, v4
	v_mov_b32_e32 v3, 0
	v_lshlrev_b64 v[2:3], 3, v[2:3]
	v_add_co_u32 v2, vcc_lo, s10, v2
	v_add_co_ci_u32_e64 v3, null, s11, v3, vcc_lo
	global_load_dwordx2 v[2:3], v[2:3], off
.LBB3_51:
	s_or_b32 exec_lo, exec_lo, s1
	v_mov_b32_e32 v4, 0
	v_mov_b32_e32 v5, v4
	;; [unrolled: 1-line block ×8, first 2 shown]
	s_and_saveexec_b32 s3, s0
	s_cbranch_execz .LBB3_63
; %bb.52:
	v_mov_b32_e32 v4, 0
	v_mov_b32_e32 v5, 0
	s_mov_b32 s4, exec_lo
	s_waitcnt vmcnt(0)
	v_cmpx_neq_f64_e64 0x7ff00000, |v[16:17]|
	s_cbranch_execz .LBB3_62
; %bb.53:
	s_mov_b32 s5, exec_lo
                                        ; implicit-def: $vgpr4_vgpr5
	v_cmpx_nlt_f64_e64 |v[16:17]|, 0.5
	s_xor_b32 s5, exec_lo, s5
	s_cbranch_execz .LBB3_59
; %bb.54:
	v_cmp_ngt_f64_e64 s1, 0x41d00000, |v[16:17]|
                                        ; implicit-def: $vgpr10
                                        ; implicit-def: $vgpr4_vgpr5
                                        ; implicit-def: $vgpr8_vgpr9
	s_and_saveexec_b32 s7, s1
	s_xor_b32 s1, exec_lo, s7
	s_cbranch_execz .LBB3_56
; %bb.55:
	v_ldexp_f64 v[4:5], |v[16:17]|, 0xffffff80
	v_cmp_le_f64_e64 vcc_lo, 0x7b000000, |v[16:17]|
	v_trig_preop_f64 v[8:9], |v[16:17]|, 0
	v_and_b32_e32 v10, 0x7fffffff, v17
	v_trig_preop_f64 v[25:26], |v[16:17]|, 2
	v_mov_b32_e32 v33, 0
	s_mov_b32 s10, 0x54442d18
	s_mov_b32 s11, 0x3ff921fb
	;; [unrolled: 1-line block ×4, first 2 shown]
	v_cndmask_b32_e32 v5, v10, v5, vcc_lo
	v_cndmask_b32_e32 v4, v16, v4, vcc_lo
	v_trig_preop_f64 v[10:11], |v[16:17]|, 1
	v_mul_f64 v[12:13], v[8:9], v[4:5]
	v_mul_f64 v[31:32], v[25:26], v[4:5]
	;; [unrolled: 1-line block ×3, first 2 shown]
	v_fma_f64 v[8:9], v[8:9], v[4:5], -v[12:13]
	v_fma_f64 v[10:11], v[10:11], v[4:5], -v[19:20]
	;; [unrolled: 1-line block ×3, first 2 shown]
	v_add_f64 v[21:22], v[19:20], v[8:9]
	v_add_f64 v[23:24], v[21:22], -v[19:20]
	v_add_f64 v[29:30], v[12:13], v[21:22]
	v_add_f64 v[27:28], v[21:22], -v[23:24]
	v_add_f64 v[8:9], v[8:9], -v[23:24]
	v_ldexp_f64 v[23:24], v[29:30], -2
	v_add_f64 v[12:13], v[29:30], -v[12:13]
	v_add_f64 v[19:20], v[19:20], -v[27:28]
	v_add_f64 v[27:28], v[31:32], v[10:11]
	v_cmp_neq_f64_e64 vcc_lo, 0x7ff00000, |v[23:24]|
	v_add_f64 v[12:13], v[21:22], -v[12:13]
	v_add_f64 v[8:9], v[8:9], v[19:20]
	v_fract_f64_e32 v[19:20], v[23:24]
	v_add_f64 v[21:22], v[27:28], v[8:9]
	v_ldexp_f64 v[19:20], v[19:20], 2
	v_add_f64 v[23:24], v[12:13], v[21:22]
	v_cndmask_b32_e32 v20, 0, v20, vcc_lo
	v_cndmask_b32_e32 v19, 0, v19, vcc_lo
	v_add_f64 v[29:30], v[23:24], v[19:20]
	v_add_f64 v[12:13], v[23:24], -v[12:13]
	v_cmp_gt_f64_e32 vcc_lo, 0, v[29:30]
	v_add_f64 v[29:30], v[27:28], -v[31:32]
	v_cndmask_b32_e64 v34, 0, 0x40100000, vcc_lo
	v_add_f64 v[38:39], v[27:28], -v[29:30]
	v_add_f64 v[10:11], v[10:11], -v[29:30]
	v_add_f64 v[19:20], v[19:20], v[33:34]
	v_add_f64 v[34:35], v[21:22], -v[27:28]
	v_add_f64 v[29:30], v[31:32], -v[38:39]
	v_add_f64 v[36:37], v[23:24], v[19:20]
	;; [unrolled: 3-line block ×3, first 2 shown]
	v_cvt_i32_f64_e32 v36, v[36:37]
	v_add_f64 v[27:28], v[27:28], -v[40:41]
	v_cvt_f64_i32_e32 v[34:35], v36
	v_add_f64 v[8:9], v[8:9], v[27:28]
	v_add_f64 v[19:20], v[19:20], -v[34:35]
	v_add_f64 v[8:9], v[10:11], v[8:9]
	v_add_f64 v[10:11], v[21:22], -v[12:13]
	v_add_f64 v[25:26], v[23:24], v[19:20]
	v_add_f64 v[4:5], v[4:5], v[8:9]
	v_add_f64 v[8:9], v[25:26], -v[19:20]
	v_cmp_le_f64_e32 vcc_lo, 0.5, v[25:26]
	v_add_f64 v[4:5], v[10:11], v[4:5]
	v_add_f64 v[8:9], v[23:24], -v[8:9]
	v_cndmask_b32_e64 v34, 0, 0x3ff00000, vcc_lo
	v_add_co_ci_u32_e64 v10, null, 0, v36, vcc_lo
	v_add_f64 v[4:5], v[4:5], v[8:9]
	v_add_f64 v[8:9], v[25:26], -v[33:34]
	v_add_f64 v[11:12], v[8:9], v[4:5]
	v_mul_f64 v[19:20], v[11:12], s[10:11]
	v_add_f64 v[8:9], v[11:12], -v[8:9]
	v_fma_f64 v[21:22], v[11:12], s[10:11], -v[19:20]
	v_add_f64 v[4:5], v[4:5], -v[8:9]
	v_fma_f64 v[8:9], v[11:12], s[12:13], v[21:22]
	v_fma_f64 v[8:9], v[4:5], s[10:11], v[8:9]
	v_add_f64 v[4:5], v[19:20], v[8:9]
	v_add_f64 v[11:12], v[4:5], -v[19:20]
	v_add_f64 v[8:9], v[8:9], -v[11:12]
.LBB3_56:
	s_andn2_saveexec_b32 s1, s1
	s_cbranch_execz .LBB3_58
; %bb.57:
	s_mov_b32 s10, 0x6dc9c883
	s_mov_b32 s11, 0x3fe45f30
	;; [unrolled: 1-line block ×3, first 2 shown]
	v_mul_f64 v[4:5], |v[16:17]|, s[10:11]
	s_mov_b32 s10, 0x54442d18
	s_mov_b32 s11, 0xbff921fb
	;; [unrolled: 1-line block ×3, first 2 shown]
	v_rndne_f64_e32 v[10:11], v[4:5]
	v_fma_f64 v[4:5], v[10:11], s[10:11], |v[16:17]|
	v_mul_f64 v[8:9], v[10:11], s[12:13]
	s_mov_b32 s10, 0x252049c0
	s_mov_b32 s11, 0xb97b839a
	v_fma_f64 v[19:20], v[10:11], s[12:13], v[4:5]
	v_add_f64 v[12:13], v[4:5], v[8:9]
	s_mov_b32 s13, 0x3c91a626
	v_add_f64 v[4:5], v[4:5], -v[12:13]
	v_add_f64 v[12:13], v[12:13], -v[19:20]
	v_add_f64 v[4:5], v[4:5], v[8:9]
	v_fma_f64 v[8:9], v[10:11], s[12:13], v[8:9]
	v_add_f64 v[4:5], v[12:13], v[4:5]
	v_add_f64 v[4:5], v[4:5], -v[8:9]
	v_fma_f64 v[8:9], v[10:11], s[10:11], v[4:5]
	v_cvt_i32_f64_e32 v10, v[10:11]
	v_add_f64 v[4:5], v[19:20], v[8:9]
	v_add_f64 v[12:13], v[4:5], -v[19:20]
	v_add_f64 v[8:9], v[8:9], -v[12:13]
.LBB3_58:
	s_or_b32 exec_lo, exec_lo, s1
	v_mul_f64 v[11:12], v[4:5], v[4:5]
	s_mov_b32 s10, 0xb42fdfa7
	s_mov_b32 s12, 0xf9a43bb8
	;; [unrolled: 1-line block ×6, first 2 shown]
	v_mul_f64 v[27:28], v[8:9], 0.5
	v_cmp_class_f64_e64 s1, v[16:17], 0x1f8
	v_fma_f64 v[19:20], v[11:12], s[12:13], s[10:11]
	s_mov_b32 s10, 0x9037ab78
	s_mov_b32 s12, 0x46cc5e42
	s_mov_b32 s11, 0x3e21eeb6
	s_mov_b32 s13, 0xbda907db
	v_mul_f64 v[23:24], v[11:12], 0.5
	v_fma_f64 v[21:22], v[11:12], s[12:13], s[10:11]
	s_mov_b32 s10, 0xa17f65f6
	s_mov_b32 s12, 0x19e83e5c
	;; [unrolled: 1-line block ×4, first 2 shown]
	v_mul_f64 v[29:30], v[4:5], -v[11:12]
	v_fma_f64 v[19:20], v[11:12], v[19:20], s[14:15]
	v_add_f64 v[25:26], -v[23:24], 1.0
	v_fma_f64 v[21:22], v[11:12], v[21:22], s[10:11]
	s_mov_b32 s10, 0x19f4ec90
	s_mov_b32 s11, 0x3efa01a0
	v_fma_f64 v[19:20], v[11:12], v[19:20], s[12:13]
	s_mov_b32 s12, 0x11110bb3
	s_mov_b32 s13, 0x3f811111
	v_add_f64 v[31:32], -v[25:26], 1.0
	v_fma_f64 v[21:22], v[11:12], v[21:22], s[10:11]
	s_mov_b32 s10, 0x16c16967
	s_mov_b32 s11, 0xbf56c16c
	v_fma_f64 v[19:20], v[11:12], v[19:20], s[12:13]
	v_add_f64 v[23:24], v[31:32], -v[23:24]
	v_fma_f64 v[21:22], v[11:12], v[21:22], s[10:11]
	s_mov_b32 s11, 0x3fa55555
	s_mov_b32 s10, 0x55555555
	v_fma_f64 v[19:20], v[29:30], v[19:20], v[27:28]
	v_mul_f64 v[27:28], v[11:12], v[11:12]
	v_fma_f64 v[23:24], v[4:5], -v[8:9], v[23:24]
	v_fma_f64 v[21:22], v[11:12], v[21:22], s[10:11]
	s_mov_b32 s11, 0xbfc55555
	v_fma_f64 v[8:9], v[11:12], v[19:20], -v[8:9]
	v_fma_f64 v[11:12], v[27:28], v[21:22], v[23:24]
	v_fma_f64 v[8:9], v[29:30], s[10:11], v[8:9]
	v_add_f64 v[11:12], v[25:26], v[11:12]
	v_add_f64 v[4:5], v[4:5], -v[8:9]
	v_and_b32_e32 v8, 1, v10
	v_cmp_eq_u32_e32 vcc_lo, 0, v8
	v_lshlrev_b32_e32 v8, 30, v10
	v_xor_b32_e32 v8, v8, v17
	v_and_b32_e32 v8, 0x80000000, v8
	v_cndmask_b32_e32 v5, v12, v5, vcc_lo
	v_cndmask_b32_e32 v4, v11, v4, vcc_lo
	v_xor_b32_e32 v5, v5, v8
	v_cndmask_b32_e64 v4, 0, v4, s1
	v_cndmask_b32_e64 v5, 0x7ff80000, v5, s1
	v_div_scale_f64 v[8:9], null, v[16:17], v[16:17], v[4:5]
	v_rcp_f64_e32 v[10:11], v[8:9]
	v_fma_f64 v[12:13], -v[8:9], v[10:11], 1.0
	v_fma_f64 v[10:11], v[10:11], v[12:13], v[10:11]
	v_fma_f64 v[12:13], -v[8:9], v[10:11], 1.0
	v_fma_f64 v[10:11], v[10:11], v[12:13], v[10:11]
	v_div_scale_f64 v[12:13], vcc_lo, v[4:5], v[16:17], v[4:5]
	v_mul_f64 v[19:20], v[12:13], v[10:11]
	v_fma_f64 v[8:9], -v[8:9], v[19:20], v[12:13]
	v_div_fmas_f64 v[8:9], v[8:9], v[10:11], v[19:20]
	v_div_fixup_f64 v[4:5], v[8:9], v[16:17], v[4:5]
                                        ; implicit-def: $vgpr16_vgpr17
.LBB3_59:
	s_andn2_saveexec_b32 s1, s5
	s_cbranch_execz .LBB3_61
; %bb.60:
	v_mul_f64 v[4:5], v[16:17], v[16:17]
	s_mov_b32 s10, 0x67f544e4
	s_mov_b32 s12, 0x13a86d09
	;; [unrolled: 1-line block ×4, first 2 shown]
	v_fma_f64 v[8:9], v[4:5], s[12:13], s[10:11]
	s_mov_b32 s10, 0xa556c734
	s_mov_b32 s11, 0x3ec71de3
	v_fma_f64 v[8:9], v[4:5], v[8:9], s[10:11]
	s_mov_b32 s10, 0x1a01a01a
	s_mov_b32 s11, 0xbf2a01a0
	;; [unrolled: 3-line block ×4, first 2 shown]
	v_fma_f64 v[8:9], v[4:5], v[8:9], s[10:11]
	v_fma_f64 v[4:5], v[4:5], v[8:9], 1.0
.LBB3_61:
	s_or_b32 exec_lo, exec_lo, s1
.LBB3_62:
	s_or_b32 exec_lo, exec_lo, s4
	v_mov_b32_e32 v12, 0
	v_mov_b32_e32 v13, v12
	;; [unrolled: 1-line block ×6, first 2 shown]
.LBB3_63:
	s_or_b32 exec_lo, exec_lo, s3
	s_mov_b32 s3, exec_lo
	v_cmpx_gt_i32_e64 s6, v18
	s_cbranch_execz .LBB3_75
; %bb.64:
	v_mov_b32_e32 v12, 0
	v_mov_b32_e32 v13, 0
	s_mov_b32 s4, exec_lo
	s_waitcnt vmcnt(0)
	v_cmpx_neq_f64_e64 0x7ff00000, |v[14:15]|
	s_cbranch_execz .LBB3_74
; %bb.65:
	s_mov_b32 s5, exec_lo
	v_cmpx_nlt_f64_e64 |v[14:15]|, 0.5
	s_xor_b32 s5, exec_lo, s5
                                        ; implicit-def: $vgpr12_vgpr13
	s_cbranch_execz .LBB3_71
; %bb.66:
	v_cmp_ngt_f64_e64 s1, 0x41d00000, |v[14:15]|
                                        ; implicit-def: $vgpr19
                                        ; implicit-def: $vgpr12_vgpr13
                                        ; implicit-def: $vgpr16_vgpr17
	s_and_saveexec_b32 s7, s1
	s_xor_b32 s1, exec_lo, s7
	s_cbranch_execz .LBB3_68
; %bb.67:
	v_ldexp_f64 v[12:13], |v[14:15]|, 0xffffff80
	v_cmp_le_f64_e64 vcc_lo, 0x7b000000, |v[14:15]|
	v_trig_preop_f64 v[16:17], |v[14:15]|, 0
	v_and_b32_e32 v19, 0x7fffffff, v15
	v_trig_preop_f64 v[29:30], |v[14:15]|, 2
	v_mov_b32_e32 v37, 0
	s_mov_b32 s10, 0x54442d18
	s_mov_b32 s11, 0x3ff921fb
	;; [unrolled: 1-line block ×4, first 2 shown]
	v_cndmask_b32_e32 v13, v19, v13, vcc_lo
	v_cndmask_b32_e32 v12, v14, v12, vcc_lo
	v_trig_preop_f64 v[19:20], |v[14:15]|, 1
	v_mul_f64 v[21:22], v[16:17], v[12:13]
	v_mul_f64 v[35:36], v[29:30], v[12:13]
	;; [unrolled: 1-line block ×3, first 2 shown]
	v_fma_f64 v[16:17], v[16:17], v[12:13], -v[21:22]
	v_fma_f64 v[19:20], v[19:20], v[12:13], -v[23:24]
	;; [unrolled: 1-line block ×3, first 2 shown]
	v_add_f64 v[25:26], v[23:24], v[16:17]
	v_add_f64 v[27:28], v[25:26], -v[23:24]
	v_add_f64 v[33:34], v[21:22], v[25:26]
	v_add_f64 v[31:32], v[25:26], -v[27:28]
	v_add_f64 v[16:17], v[16:17], -v[27:28]
	v_ldexp_f64 v[27:28], v[33:34], -2
	v_add_f64 v[21:22], v[33:34], -v[21:22]
	v_add_f64 v[23:24], v[23:24], -v[31:32]
	v_add_f64 v[31:32], v[35:36], v[19:20]
	v_cmp_neq_f64_e64 vcc_lo, 0x7ff00000, |v[27:28]|
	v_add_f64 v[21:22], v[25:26], -v[21:22]
	v_add_f64 v[16:17], v[16:17], v[23:24]
	v_fract_f64_e32 v[23:24], v[27:28]
	v_add_f64 v[25:26], v[31:32], v[16:17]
	v_ldexp_f64 v[23:24], v[23:24], 2
	v_add_f64 v[27:28], v[21:22], v[25:26]
	v_cndmask_b32_e32 v24, 0, v24, vcc_lo
	v_cndmask_b32_e32 v23, 0, v23, vcc_lo
	v_add_f64 v[33:34], v[27:28], v[23:24]
	v_add_f64 v[21:22], v[27:28], -v[21:22]
	v_cmp_gt_f64_e32 vcc_lo, 0, v[33:34]
	v_add_f64 v[33:34], v[31:32], -v[35:36]
	v_cndmask_b32_e64 v38, 0, 0x40100000, vcc_lo
	v_add_f64 v[42:43], v[31:32], -v[33:34]
	v_add_f64 v[19:20], v[19:20], -v[33:34]
	v_add_f64 v[23:24], v[23:24], v[37:38]
	v_add_f64 v[38:39], v[25:26], -v[31:32]
	v_add_f64 v[33:34], v[35:36], -v[42:43]
	v_add_f64 v[40:41], v[27:28], v[23:24]
	;; [unrolled: 3-line block ×3, first 2 shown]
	v_cvt_i32_f64_e32 v40, v[40:41]
	v_add_f64 v[31:32], v[31:32], -v[44:45]
	v_cvt_f64_i32_e32 v[38:39], v40
	v_add_f64 v[16:17], v[16:17], v[31:32]
	v_add_f64 v[23:24], v[23:24], -v[38:39]
	v_add_f64 v[16:17], v[19:20], v[16:17]
	v_add_f64 v[19:20], v[25:26], -v[21:22]
	v_add_f64 v[29:30], v[27:28], v[23:24]
	v_add_f64 v[12:13], v[12:13], v[16:17]
	v_add_f64 v[16:17], v[29:30], -v[23:24]
	v_cmp_le_f64_e32 vcc_lo, 0.5, v[29:30]
	v_add_f64 v[12:13], v[19:20], v[12:13]
	v_add_f64 v[16:17], v[27:28], -v[16:17]
	v_cndmask_b32_e64 v38, 0, 0x3ff00000, vcc_lo
	v_add_co_ci_u32_e64 v19, null, 0, v40, vcc_lo
	v_add_f64 v[12:13], v[12:13], v[16:17]
	v_add_f64 v[16:17], v[29:30], -v[37:38]
	v_add_f64 v[20:21], v[16:17], v[12:13]
	v_mul_f64 v[22:23], v[20:21], s[10:11]
	v_add_f64 v[16:17], v[20:21], -v[16:17]
	v_fma_f64 v[24:25], v[20:21], s[10:11], -v[22:23]
	v_add_f64 v[12:13], v[12:13], -v[16:17]
	v_fma_f64 v[16:17], v[20:21], s[12:13], v[24:25]
	v_fma_f64 v[16:17], v[12:13], s[10:11], v[16:17]
	v_add_f64 v[12:13], v[22:23], v[16:17]
	v_add_f64 v[20:21], v[12:13], -v[22:23]
	v_add_f64 v[16:17], v[16:17], -v[20:21]
.LBB3_68:
	s_andn2_saveexec_b32 s1, s1
	s_cbranch_execz .LBB3_70
; %bb.69:
	s_mov_b32 s10, 0x6dc9c883
	s_mov_b32 s11, 0x3fe45f30
	s_mov_b32 s13, 0xbc91a626
	v_mul_f64 v[12:13], |v[14:15]|, s[10:11]
	s_mov_b32 s10, 0x54442d18
	s_mov_b32 s11, 0xbff921fb
	;; [unrolled: 1-line block ×3, first 2 shown]
	v_rndne_f64_e32 v[19:20], v[12:13]
	v_fma_f64 v[12:13], v[19:20], s[10:11], |v[14:15]|
	v_mul_f64 v[16:17], v[19:20], s[12:13]
	s_mov_b32 s10, 0x252049c0
	s_mov_b32 s11, 0xb97b839a
	v_fma_f64 v[23:24], v[19:20], s[12:13], v[12:13]
	v_add_f64 v[21:22], v[12:13], v[16:17]
	s_mov_b32 s13, 0x3c91a626
	v_add_f64 v[12:13], v[12:13], -v[21:22]
	v_add_f64 v[21:22], v[21:22], -v[23:24]
	v_add_f64 v[12:13], v[12:13], v[16:17]
	v_fma_f64 v[16:17], v[19:20], s[12:13], v[16:17]
	v_add_f64 v[12:13], v[21:22], v[12:13]
	v_add_f64 v[12:13], v[12:13], -v[16:17]
	v_fma_f64 v[16:17], v[19:20], s[10:11], v[12:13]
	v_cvt_i32_f64_e32 v19, v[19:20]
	v_add_f64 v[12:13], v[23:24], v[16:17]
	v_add_f64 v[21:22], v[12:13], -v[23:24]
	v_add_f64 v[16:17], v[16:17], -v[21:22]
.LBB3_70:
	s_or_b32 exec_lo, exec_lo, s1
	v_mul_f64 v[20:21], v[12:13], v[12:13]
	s_mov_b32 s10, 0xb42fdfa7
	s_mov_b32 s12, 0xf9a43bb8
	;; [unrolled: 1-line block ×6, first 2 shown]
	v_mul_f64 v[30:31], v[16:17], 0.5
	v_cmp_class_f64_e64 s1, v[14:15], 0x1f8
	v_fma_f64 v[22:23], v[20:21], s[12:13], s[10:11]
	s_mov_b32 s10, 0x9037ab78
	s_mov_b32 s12, 0x46cc5e42
	;; [unrolled: 1-line block ×4, first 2 shown]
	v_mul_f64 v[26:27], v[20:21], 0.5
	v_fma_f64 v[24:25], v[20:21], s[12:13], s[10:11]
	s_mov_b32 s10, 0xa17f65f6
	s_mov_b32 s12, 0x19e83e5c
	;; [unrolled: 1-line block ×4, first 2 shown]
	v_mul_f64 v[32:33], v[12:13], -v[20:21]
	v_fma_f64 v[22:23], v[20:21], v[22:23], s[14:15]
	v_add_f64 v[28:29], -v[26:27], 1.0
	v_fma_f64 v[24:25], v[20:21], v[24:25], s[10:11]
	s_mov_b32 s10, 0x19f4ec90
	s_mov_b32 s11, 0x3efa01a0
	v_fma_f64 v[22:23], v[20:21], v[22:23], s[12:13]
	s_mov_b32 s12, 0x11110bb3
	s_mov_b32 s13, 0x3f811111
	v_add_f64 v[34:35], -v[28:29], 1.0
	v_fma_f64 v[24:25], v[20:21], v[24:25], s[10:11]
	s_mov_b32 s10, 0x16c16967
	s_mov_b32 s11, 0xbf56c16c
	v_fma_f64 v[22:23], v[20:21], v[22:23], s[12:13]
	v_add_f64 v[26:27], v[34:35], -v[26:27]
	v_fma_f64 v[24:25], v[20:21], v[24:25], s[10:11]
	s_mov_b32 s11, 0x3fa55555
	s_mov_b32 s10, 0x55555555
	v_fma_f64 v[22:23], v[32:33], v[22:23], v[30:31]
	v_mul_f64 v[30:31], v[20:21], v[20:21]
	v_fma_f64 v[26:27], v[12:13], -v[16:17], v[26:27]
	v_fma_f64 v[24:25], v[20:21], v[24:25], s[10:11]
	s_mov_b32 s11, 0xbfc55555
	v_fma_f64 v[16:17], v[20:21], v[22:23], -v[16:17]
	v_fma_f64 v[20:21], v[30:31], v[24:25], v[26:27]
	v_fma_f64 v[16:17], v[32:33], s[10:11], v[16:17]
	v_add_f64 v[20:21], v[28:29], v[20:21]
	v_add_f64 v[12:13], v[12:13], -v[16:17]
	v_and_b32_e32 v16, 1, v19
	v_cmp_eq_u32_e32 vcc_lo, 0, v16
	v_lshlrev_b32_e32 v16, 30, v19
	v_xor_b32_e32 v16, v16, v15
	v_and_b32_e32 v16, 0x80000000, v16
	v_cndmask_b32_e32 v13, v21, v13, vcc_lo
	v_cndmask_b32_e32 v12, v20, v12, vcc_lo
	v_xor_b32_e32 v13, v13, v16
	v_cndmask_b32_e64 v12, 0, v12, s1
	v_cndmask_b32_e64 v13, 0x7ff80000, v13, s1
	v_div_scale_f64 v[16:17], null, v[14:15], v[14:15], v[12:13]
	v_rcp_f64_e32 v[19:20], v[16:17]
	v_fma_f64 v[21:22], -v[16:17], v[19:20], 1.0
	v_fma_f64 v[19:20], v[19:20], v[21:22], v[19:20]
	v_fma_f64 v[21:22], -v[16:17], v[19:20], 1.0
	v_fma_f64 v[19:20], v[19:20], v[21:22], v[19:20]
	v_div_scale_f64 v[21:22], vcc_lo, v[12:13], v[14:15], v[12:13]
	v_mul_f64 v[23:24], v[21:22], v[19:20]
	v_fma_f64 v[16:17], -v[16:17], v[23:24], v[21:22]
	v_div_fmas_f64 v[16:17], v[16:17], v[19:20], v[23:24]
	v_div_fixup_f64 v[12:13], v[16:17], v[14:15], v[12:13]
                                        ; implicit-def: $vgpr14_vgpr15
.LBB3_71:
	s_andn2_saveexec_b32 s1, s5
	s_cbranch_execz .LBB3_73
; %bb.72:
	v_mul_f64 v[12:13], v[14:15], v[14:15]
	s_mov_b32 s10, 0x67f544e4
	s_mov_b32 s12, 0x13a86d09
	;; [unrolled: 1-line block ×4, first 2 shown]
	v_fma_f64 v[14:15], v[12:13], s[12:13], s[10:11]
	s_mov_b32 s10, 0xa556c734
	s_mov_b32 s11, 0x3ec71de3
	v_fma_f64 v[14:15], v[12:13], v[14:15], s[10:11]
	s_mov_b32 s10, 0x1a01a01a
	s_mov_b32 s11, 0xbf2a01a0
	;; [unrolled: 3-line block ×4, first 2 shown]
	v_fma_f64 v[14:15], v[12:13], v[14:15], s[10:11]
	v_fma_f64 v[12:13], v[12:13], v[14:15], 1.0
.LBB3_73:
	s_or_b32 exec_lo, exec_lo, s1
.LBB3_74:
	s_or_b32 exec_lo, exec_lo, s4
.LBB3_75:
	s_or_b32 exec_lo, exec_lo, s3
	s_waitcnt vmcnt(0)
	v_or_b32_e32 v14, 0x200, v0
	s_mov_b32 s3, exec_lo
	v_cmpx_gt_i32_e64 s6, v14
	s_cbranch_execz .LBB3_87
; %bb.76:
	v_mov_b32_e32 v10, 0
	v_mov_b32_e32 v11, 0
	s_mov_b32 s4, exec_lo
	v_cmpx_neq_f64_e64 0x7ff00000, |v[6:7]|
	s_cbranch_execz .LBB3_86
; %bb.77:
	s_mov_b32 s5, exec_lo
	v_cmpx_nlt_f64_e64 |v[6:7]|, 0.5
	s_xor_b32 s5, exec_lo, s5
                                        ; implicit-def: $vgpr10_vgpr11
	s_cbranch_execz .LBB3_83
; %bb.78:
	v_cmp_ngt_f64_e64 s1, 0x41d00000, |v[6:7]|
                                        ; implicit-def: $vgpr16
                                        ; implicit-def: $vgpr10_vgpr11
                                        ; implicit-def: $vgpr14_vgpr15
	s_and_saveexec_b32 s7, s1
	s_xor_b32 s1, exec_lo, s7
	s_cbranch_execz .LBB3_80
; %bb.79:
	v_ldexp_f64 v[10:11], |v[6:7]|, 0xffffff80
	v_cmp_le_f64_e64 vcc_lo, 0x7b000000, |v[6:7]|
	v_trig_preop_f64 v[14:15], |v[6:7]|, 0
	v_and_b32_e32 v16, 0x7fffffff, v7
	v_trig_preop_f64 v[27:28], |v[6:7]|, 2
	v_mov_b32_e32 v35, 0
	s_mov_b32 s10, 0x54442d18
	s_mov_b32 s11, 0x3ff921fb
	;; [unrolled: 1-line block ×4, first 2 shown]
	v_cndmask_b32_e32 v11, v16, v11, vcc_lo
	v_cndmask_b32_e32 v10, v6, v10, vcc_lo
	v_trig_preop_f64 v[16:17], |v[6:7]|, 1
	v_mul_f64 v[19:20], v[14:15], v[10:11]
	v_mul_f64 v[33:34], v[27:28], v[10:11]
	v_mul_f64 v[21:22], v[16:17], v[10:11]
	v_fma_f64 v[14:15], v[14:15], v[10:11], -v[19:20]
	v_fma_f64 v[16:17], v[16:17], v[10:11], -v[21:22]
	;; [unrolled: 1-line block ×3, first 2 shown]
	v_add_f64 v[23:24], v[21:22], v[14:15]
	v_add_f64 v[25:26], v[23:24], -v[21:22]
	v_add_f64 v[31:32], v[19:20], v[23:24]
	v_add_f64 v[29:30], v[23:24], -v[25:26]
	v_add_f64 v[14:15], v[14:15], -v[25:26]
	v_ldexp_f64 v[25:26], v[31:32], -2
	v_add_f64 v[19:20], v[31:32], -v[19:20]
	v_add_f64 v[21:22], v[21:22], -v[29:30]
	v_add_f64 v[29:30], v[33:34], v[16:17]
	v_cmp_neq_f64_e64 vcc_lo, 0x7ff00000, |v[25:26]|
	v_add_f64 v[19:20], v[23:24], -v[19:20]
	v_add_f64 v[14:15], v[14:15], v[21:22]
	v_fract_f64_e32 v[21:22], v[25:26]
	v_add_f64 v[23:24], v[29:30], v[14:15]
	v_ldexp_f64 v[21:22], v[21:22], 2
	v_add_f64 v[25:26], v[19:20], v[23:24]
	v_cndmask_b32_e32 v22, 0, v22, vcc_lo
	v_cndmask_b32_e32 v21, 0, v21, vcc_lo
	v_add_f64 v[31:32], v[25:26], v[21:22]
	v_add_f64 v[19:20], v[25:26], -v[19:20]
	v_cmp_gt_f64_e32 vcc_lo, 0, v[31:32]
	v_add_f64 v[31:32], v[29:30], -v[33:34]
	v_cndmask_b32_e64 v36, 0, 0x40100000, vcc_lo
	v_add_f64 v[40:41], v[29:30], -v[31:32]
	v_add_f64 v[16:17], v[16:17], -v[31:32]
	v_add_f64 v[21:22], v[21:22], v[35:36]
	v_add_f64 v[36:37], v[23:24], -v[29:30]
	v_add_f64 v[31:32], v[33:34], -v[40:41]
	v_add_f64 v[38:39], v[25:26], v[21:22]
	v_add_f64 v[42:43], v[23:24], -v[36:37]
	v_add_f64 v[14:15], v[14:15], -v[36:37]
	v_add_f64 v[16:17], v[16:17], v[31:32]
	v_cvt_i32_f64_e32 v38, v[38:39]
	v_add_f64 v[29:30], v[29:30], -v[42:43]
	v_cvt_f64_i32_e32 v[36:37], v38
	v_add_f64 v[14:15], v[14:15], v[29:30]
	v_add_f64 v[21:22], v[21:22], -v[36:37]
	v_add_f64 v[14:15], v[16:17], v[14:15]
	v_add_f64 v[16:17], v[23:24], -v[19:20]
	v_add_f64 v[27:28], v[25:26], v[21:22]
	v_add_f64 v[10:11], v[10:11], v[14:15]
	v_add_f64 v[14:15], v[27:28], -v[21:22]
	v_cmp_le_f64_e32 vcc_lo, 0.5, v[27:28]
	v_add_f64 v[10:11], v[16:17], v[10:11]
	v_add_f64 v[14:15], v[25:26], -v[14:15]
	v_cndmask_b32_e64 v36, 0, 0x3ff00000, vcc_lo
	v_add_co_ci_u32_e64 v16, null, 0, v38, vcc_lo
	v_add_f64 v[10:11], v[10:11], v[14:15]
	v_add_f64 v[14:15], v[27:28], -v[35:36]
	v_add_f64 v[19:20], v[14:15], v[10:11]
	v_mul_f64 v[21:22], v[19:20], s[10:11]
	v_add_f64 v[14:15], v[19:20], -v[14:15]
	v_fma_f64 v[23:24], v[19:20], s[10:11], -v[21:22]
	v_add_f64 v[10:11], v[10:11], -v[14:15]
	v_fma_f64 v[14:15], v[19:20], s[12:13], v[23:24]
	v_fma_f64 v[14:15], v[10:11], s[10:11], v[14:15]
	v_add_f64 v[10:11], v[21:22], v[14:15]
	v_add_f64 v[19:20], v[10:11], -v[21:22]
	v_add_f64 v[14:15], v[14:15], -v[19:20]
.LBB3_80:
	s_andn2_saveexec_b32 s1, s1
	s_cbranch_execz .LBB3_82
; %bb.81:
	s_mov_b32 s10, 0x6dc9c883
	s_mov_b32 s11, 0x3fe45f30
	;; [unrolled: 1-line block ×3, first 2 shown]
	v_mul_f64 v[10:11], |v[6:7]|, s[10:11]
	s_mov_b32 s10, 0x54442d18
	s_mov_b32 s11, 0xbff921fb
	;; [unrolled: 1-line block ×3, first 2 shown]
	v_rndne_f64_e32 v[16:17], v[10:11]
	v_fma_f64 v[10:11], v[16:17], s[10:11], |v[6:7]|
	v_mul_f64 v[14:15], v[16:17], s[12:13]
	s_mov_b32 s10, 0x252049c0
	s_mov_b32 s11, 0xb97b839a
	v_fma_f64 v[21:22], v[16:17], s[12:13], v[10:11]
	v_add_f64 v[19:20], v[10:11], v[14:15]
	s_mov_b32 s13, 0x3c91a626
	v_add_f64 v[10:11], v[10:11], -v[19:20]
	v_add_f64 v[19:20], v[19:20], -v[21:22]
	v_add_f64 v[10:11], v[10:11], v[14:15]
	v_fma_f64 v[14:15], v[16:17], s[12:13], v[14:15]
	v_add_f64 v[10:11], v[19:20], v[10:11]
	v_add_f64 v[10:11], v[10:11], -v[14:15]
	v_fma_f64 v[14:15], v[16:17], s[10:11], v[10:11]
	v_cvt_i32_f64_e32 v16, v[16:17]
	v_add_f64 v[10:11], v[21:22], v[14:15]
	v_add_f64 v[19:20], v[10:11], -v[21:22]
	v_add_f64 v[14:15], v[14:15], -v[19:20]
.LBB3_82:
	s_or_b32 exec_lo, exec_lo, s1
	v_mul_f64 v[19:20], v[10:11], v[10:11]
	s_mov_b32 s10, 0xb42fdfa7
	s_mov_b32 s12, 0xf9a43bb8
	s_mov_b32 s11, 0xbe5ae600
	s_mov_b32 s13, 0x3de5e0b2
	s_mov_b32 s14, 0x796cde01
	s_mov_b32 s15, 0x3ec71de3
	v_mul_f64 v[29:30], v[14:15], 0.5
	v_cmp_class_f64_e64 s1, v[6:7], 0x1f8
	v_fma_f64 v[21:22], v[19:20], s[12:13], s[10:11]
	s_mov_b32 s10, 0x9037ab78
	s_mov_b32 s12, 0x46cc5e42
	;; [unrolled: 1-line block ×4, first 2 shown]
	v_mul_f64 v[25:26], v[19:20], 0.5
	v_fma_f64 v[23:24], v[19:20], s[12:13], s[10:11]
	s_mov_b32 s10, 0xa17f65f6
	s_mov_b32 s12, 0x19e83e5c
	;; [unrolled: 1-line block ×4, first 2 shown]
	v_mul_f64 v[31:32], v[10:11], -v[19:20]
	v_fma_f64 v[21:22], v[19:20], v[21:22], s[14:15]
	v_add_f64 v[27:28], -v[25:26], 1.0
	v_fma_f64 v[23:24], v[19:20], v[23:24], s[10:11]
	s_mov_b32 s10, 0x19f4ec90
	s_mov_b32 s11, 0x3efa01a0
	v_fma_f64 v[21:22], v[19:20], v[21:22], s[12:13]
	s_mov_b32 s12, 0x11110bb3
	s_mov_b32 s13, 0x3f811111
	v_add_f64 v[33:34], -v[27:28], 1.0
	v_fma_f64 v[23:24], v[19:20], v[23:24], s[10:11]
	s_mov_b32 s10, 0x16c16967
	s_mov_b32 s11, 0xbf56c16c
	v_fma_f64 v[21:22], v[19:20], v[21:22], s[12:13]
	v_add_f64 v[25:26], v[33:34], -v[25:26]
	v_fma_f64 v[23:24], v[19:20], v[23:24], s[10:11]
	s_mov_b32 s11, 0x3fa55555
	s_mov_b32 s10, 0x55555555
	v_fma_f64 v[21:22], v[31:32], v[21:22], v[29:30]
	v_mul_f64 v[29:30], v[19:20], v[19:20]
	v_fma_f64 v[25:26], v[10:11], -v[14:15], v[25:26]
	v_fma_f64 v[23:24], v[19:20], v[23:24], s[10:11]
	s_mov_b32 s11, 0xbfc55555
	v_fma_f64 v[14:15], v[19:20], v[21:22], -v[14:15]
	v_fma_f64 v[19:20], v[29:30], v[23:24], v[25:26]
	v_fma_f64 v[14:15], v[31:32], s[10:11], v[14:15]
	v_add_f64 v[19:20], v[27:28], v[19:20]
	v_add_f64 v[10:11], v[10:11], -v[14:15]
	v_and_b32_e32 v14, 1, v16
	v_cmp_eq_u32_e32 vcc_lo, 0, v14
	v_lshlrev_b32_e32 v14, 30, v16
	v_xor_b32_e32 v14, v14, v7
	v_and_b32_e32 v14, 0x80000000, v14
	v_cndmask_b32_e32 v11, v20, v11, vcc_lo
	v_cndmask_b32_e32 v10, v19, v10, vcc_lo
	v_xor_b32_e32 v11, v11, v14
	v_cndmask_b32_e64 v10, 0, v10, s1
	v_cndmask_b32_e64 v11, 0x7ff80000, v11, s1
	v_div_scale_f64 v[14:15], null, v[6:7], v[6:7], v[10:11]
	v_rcp_f64_e32 v[16:17], v[14:15]
	v_fma_f64 v[19:20], -v[14:15], v[16:17], 1.0
	v_fma_f64 v[16:17], v[16:17], v[19:20], v[16:17]
	v_fma_f64 v[19:20], -v[14:15], v[16:17], 1.0
	v_fma_f64 v[16:17], v[16:17], v[19:20], v[16:17]
	v_div_scale_f64 v[19:20], vcc_lo, v[10:11], v[6:7], v[10:11]
	v_mul_f64 v[21:22], v[19:20], v[16:17]
	v_fma_f64 v[14:15], -v[14:15], v[21:22], v[19:20]
	v_div_fmas_f64 v[14:15], v[14:15], v[16:17], v[21:22]
	v_div_fixup_f64 v[10:11], v[14:15], v[6:7], v[10:11]
                                        ; implicit-def: $vgpr6_vgpr7
.LBB3_83:
	s_andn2_saveexec_b32 s1, s5
	s_cbranch_execz .LBB3_85
; %bb.84:
	v_mul_f64 v[6:7], v[6:7], v[6:7]
	s_mov_b32 s10, 0x67f544e4
	s_mov_b32 s12, 0x13a86d09
	;; [unrolled: 1-line block ×4, first 2 shown]
	v_fma_f64 v[10:11], v[6:7], s[12:13], s[10:11]
	s_mov_b32 s10, 0xa556c734
	s_mov_b32 s11, 0x3ec71de3
	v_fma_f64 v[10:11], v[6:7], v[10:11], s[10:11]
	s_mov_b32 s10, 0x1a01a01a
	s_mov_b32 s11, 0xbf2a01a0
	;; [unrolled: 3-line block ×4, first 2 shown]
	v_fma_f64 v[10:11], v[6:7], v[10:11], s[10:11]
	v_fma_f64 v[10:11], v[6:7], v[10:11], 1.0
.LBB3_85:
	s_or_b32 exec_lo, exec_lo, s1
.LBB3_86:
	s_or_b32 exec_lo, exec_lo, s4
.LBB3_87:
	s_or_b32 exec_lo, exec_lo, s3
	v_or_b32_e32 v6, 0x300, v0
	s_mov_b32 s3, exec_lo
	v_cmpx_gt_i32_e64 s6, v6
	s_cbranch_execnz .LBB3_94
; %bb.88:
	s_or_b32 exec_lo, exec_lo, s3
	s_and_saveexec_b32 s1, s0
	s_xor_b32 s0, exec_lo, s1
	s_cbranch_execnz .LBB3_105
.LBB3_89:
	s_or_b32 exec_lo, exec_lo, s0
	s_mov_b32 s0, exec_lo
	v_cmpx_gt_i32_e64 s6, v0
	s_cbranch_execnz .LBB3_106
.LBB3_90:
	s_or_b32 exec_lo, exec_lo, s0
	s_mov_b32 s0, exec_lo
	v_cmpx_gt_i32_e64 s6, v0
	s_cbranch_execnz .LBB3_107
.LBB3_91:
	s_or_b32 exec_lo, exec_lo, s0
	s_mov_b32 s0, exec_lo
	v_cmpx_gt_i32_e64 s6, v0
	s_cbranch_execz .LBB3_93
.LBB3_92:
	v_add_nc_u32_e32 v0, s2, v0
	v_mov_b32_e32 v1, 0
	v_lshlrev_b64 v[0:1], 3, v[0:1]
	v_add_co_u32 v0, vcc_lo, s8, v0
	v_add_co_ci_u32_e64 v1, null, s9, v1, vcc_lo
	global_store_dwordx2 v[0:1], v[8:9], off
.LBB3_93:
	s_endpgm
.LBB3_94:
	v_mov_b32_e32 v8, 0
	v_mov_b32_e32 v9, 0
	s_mov_b32 s4, exec_lo
	v_cmpx_neq_f64_e64 0x7ff00000, |v[2:3]|
	s_cbranch_execz .LBB3_104
; %bb.95:
	s_mov_b32 s5, exec_lo
	v_cmpx_nlt_f64_e64 |v[2:3]|, 0.5
	s_xor_b32 s5, exec_lo, s5
                                        ; implicit-def: $vgpr8_vgpr9
	s_cbranch_execz .LBB3_101
; %bb.96:
	v_cmp_ngt_f64_e64 s1, 0x41d00000, |v[2:3]|
                                        ; implicit-def: $vgpr14
                                        ; implicit-def: $vgpr6_vgpr7
                                        ; implicit-def: $vgpr8_vgpr9
	s_and_saveexec_b32 s7, s1
	s_xor_b32 s1, exec_lo, s7
	s_cbranch_execz .LBB3_98
; %bb.97:
	v_ldexp_f64 v[6:7], |v[2:3]|, 0xffffff80
	v_cmp_le_f64_e64 vcc_lo, 0x7b000000, |v[2:3]|
	v_trig_preop_f64 v[8:9], |v[2:3]|, 0
	v_and_b32_e32 v14, 0x7fffffff, v3
	v_trig_preop_f64 v[25:26], |v[2:3]|, 2
	v_mov_b32_e32 v33, 0
	s_mov_b32 s10, 0x54442d18
	s_mov_b32 s11, 0x3ff921fb
	;; [unrolled: 1-line block ×4, first 2 shown]
	v_cndmask_b32_e32 v7, v14, v7, vcc_lo
	v_cndmask_b32_e32 v6, v2, v6, vcc_lo
	v_trig_preop_f64 v[14:15], |v[2:3]|, 1
	v_mul_f64 v[16:17], v[8:9], v[6:7]
	v_mul_f64 v[31:32], v[25:26], v[6:7]
	;; [unrolled: 1-line block ×3, first 2 shown]
	v_fma_f64 v[8:9], v[8:9], v[6:7], -v[16:17]
	v_fma_f64 v[14:15], v[14:15], v[6:7], -v[19:20]
	;; [unrolled: 1-line block ×3, first 2 shown]
	v_add_f64 v[21:22], v[19:20], v[8:9]
	v_add_f64 v[23:24], v[21:22], -v[19:20]
	v_add_f64 v[29:30], v[16:17], v[21:22]
	v_add_f64 v[27:28], v[21:22], -v[23:24]
	v_add_f64 v[8:9], v[8:9], -v[23:24]
	v_ldexp_f64 v[23:24], v[29:30], -2
	v_add_f64 v[16:17], v[29:30], -v[16:17]
	v_add_f64 v[19:20], v[19:20], -v[27:28]
	v_add_f64 v[27:28], v[31:32], v[14:15]
	v_cmp_neq_f64_e64 vcc_lo, 0x7ff00000, |v[23:24]|
	v_add_f64 v[16:17], v[21:22], -v[16:17]
	v_add_f64 v[8:9], v[8:9], v[19:20]
	v_fract_f64_e32 v[19:20], v[23:24]
	v_add_f64 v[21:22], v[27:28], v[8:9]
	v_ldexp_f64 v[19:20], v[19:20], 2
	v_add_f64 v[23:24], v[16:17], v[21:22]
	v_cndmask_b32_e32 v20, 0, v20, vcc_lo
	v_cndmask_b32_e32 v19, 0, v19, vcc_lo
	v_add_f64 v[29:30], v[23:24], v[19:20]
	v_add_f64 v[16:17], v[23:24], -v[16:17]
	v_cmp_gt_f64_e32 vcc_lo, 0, v[29:30]
	v_add_f64 v[29:30], v[27:28], -v[31:32]
	v_cndmask_b32_e64 v34, 0, 0x40100000, vcc_lo
	v_add_f64 v[38:39], v[27:28], -v[29:30]
	v_add_f64 v[14:15], v[14:15], -v[29:30]
	v_add_f64 v[19:20], v[19:20], v[33:34]
	v_add_f64 v[34:35], v[21:22], -v[27:28]
	v_add_f64 v[29:30], v[31:32], -v[38:39]
	v_add_f64 v[36:37], v[23:24], v[19:20]
	;; [unrolled: 3-line block ×3, first 2 shown]
	v_cvt_i32_f64_e32 v36, v[36:37]
	v_add_f64 v[27:28], v[27:28], -v[40:41]
	v_cvt_f64_i32_e32 v[34:35], v36
	v_add_f64 v[8:9], v[8:9], v[27:28]
	v_add_f64 v[19:20], v[19:20], -v[34:35]
	v_add_f64 v[8:9], v[14:15], v[8:9]
	v_add_f64 v[14:15], v[21:22], -v[16:17]
	v_add_f64 v[25:26], v[23:24], v[19:20]
	v_add_f64 v[6:7], v[6:7], v[8:9]
	v_add_f64 v[8:9], v[25:26], -v[19:20]
	v_cmp_le_f64_e32 vcc_lo, 0.5, v[25:26]
	v_add_f64 v[6:7], v[14:15], v[6:7]
	v_add_f64 v[8:9], v[23:24], -v[8:9]
	v_cndmask_b32_e64 v34, 0, 0x3ff00000, vcc_lo
	v_add_co_ci_u32_e64 v14, null, 0, v36, vcc_lo
	v_add_f64 v[6:7], v[6:7], v[8:9]
	v_add_f64 v[8:9], v[25:26], -v[33:34]
	v_add_f64 v[15:16], v[8:9], v[6:7]
	v_mul_f64 v[19:20], v[15:16], s[10:11]
	v_add_f64 v[8:9], v[15:16], -v[8:9]
	v_fma_f64 v[21:22], v[15:16], s[10:11], -v[19:20]
	v_add_f64 v[6:7], v[6:7], -v[8:9]
	v_fma_f64 v[8:9], v[15:16], s[12:13], v[21:22]
	v_fma_f64 v[8:9], v[6:7], s[10:11], v[8:9]
	v_add_f64 v[6:7], v[19:20], v[8:9]
	v_add_f64 v[15:16], v[6:7], -v[19:20]
	v_add_f64 v[8:9], v[8:9], -v[15:16]
.LBB3_98:
	s_andn2_saveexec_b32 s1, s1
	s_cbranch_execz .LBB3_100
; %bb.99:
	s_mov_b32 s10, 0x6dc9c883
	s_mov_b32 s11, 0x3fe45f30
	;; [unrolled: 1-line block ×3, first 2 shown]
	v_mul_f64 v[6:7], |v[2:3]|, s[10:11]
	s_mov_b32 s10, 0x54442d18
	s_mov_b32 s11, 0xbff921fb
	;; [unrolled: 1-line block ×3, first 2 shown]
	v_rndne_f64_e32 v[14:15], v[6:7]
	v_fma_f64 v[6:7], v[14:15], s[10:11], |v[2:3]|
	v_mul_f64 v[8:9], v[14:15], s[12:13]
	s_mov_b32 s10, 0x252049c0
	s_mov_b32 s11, 0xb97b839a
	v_fma_f64 v[19:20], v[14:15], s[12:13], v[6:7]
	v_add_f64 v[16:17], v[6:7], v[8:9]
	s_mov_b32 s13, 0x3c91a626
	v_add_f64 v[6:7], v[6:7], -v[16:17]
	v_add_f64 v[16:17], v[16:17], -v[19:20]
	v_add_f64 v[6:7], v[6:7], v[8:9]
	v_fma_f64 v[8:9], v[14:15], s[12:13], v[8:9]
	v_add_f64 v[6:7], v[16:17], v[6:7]
	v_add_f64 v[6:7], v[6:7], -v[8:9]
	v_fma_f64 v[8:9], v[14:15], s[10:11], v[6:7]
	v_cvt_i32_f64_e32 v14, v[14:15]
	v_add_f64 v[6:7], v[19:20], v[8:9]
	v_add_f64 v[16:17], v[6:7], -v[19:20]
	v_add_f64 v[8:9], v[8:9], -v[16:17]
.LBB3_100:
	s_or_b32 exec_lo, exec_lo, s1
	v_mul_f64 v[15:16], v[6:7], v[6:7]
	s_mov_b32 s10, 0xb42fdfa7
	s_mov_b32 s12, 0xf9a43bb8
	;; [unrolled: 1-line block ×6, first 2 shown]
	v_mul_f64 v[27:28], v[8:9], 0.5
	v_cmp_class_f64_e64 s1, v[2:3], 0x1f8
	v_fma_f64 v[19:20], v[15:16], s[12:13], s[10:11]
	s_mov_b32 s10, 0x9037ab78
	s_mov_b32 s12, 0x46cc5e42
	;; [unrolled: 1-line block ×4, first 2 shown]
	v_mul_f64 v[23:24], v[15:16], 0.5
	v_fma_f64 v[21:22], v[15:16], s[12:13], s[10:11]
	s_mov_b32 s10, 0xa17f65f6
	s_mov_b32 s12, 0x19e83e5c
	;; [unrolled: 1-line block ×4, first 2 shown]
	v_mul_f64 v[29:30], v[6:7], -v[15:16]
	v_fma_f64 v[19:20], v[15:16], v[19:20], s[14:15]
	v_add_f64 v[25:26], -v[23:24], 1.0
	v_fma_f64 v[21:22], v[15:16], v[21:22], s[10:11]
	s_mov_b32 s10, 0x19f4ec90
	s_mov_b32 s11, 0x3efa01a0
	v_fma_f64 v[19:20], v[15:16], v[19:20], s[12:13]
	s_mov_b32 s12, 0x11110bb3
	s_mov_b32 s13, 0x3f811111
	v_add_f64 v[31:32], -v[25:26], 1.0
	v_fma_f64 v[21:22], v[15:16], v[21:22], s[10:11]
	s_mov_b32 s10, 0x16c16967
	s_mov_b32 s11, 0xbf56c16c
	v_fma_f64 v[19:20], v[15:16], v[19:20], s[12:13]
	v_add_f64 v[23:24], v[31:32], -v[23:24]
	v_fma_f64 v[21:22], v[15:16], v[21:22], s[10:11]
	s_mov_b32 s11, 0x3fa55555
	s_mov_b32 s10, 0x55555555
	v_fma_f64 v[19:20], v[29:30], v[19:20], v[27:28]
	v_mul_f64 v[27:28], v[15:16], v[15:16]
	v_fma_f64 v[23:24], v[6:7], -v[8:9], v[23:24]
	v_fma_f64 v[21:22], v[15:16], v[21:22], s[10:11]
	s_mov_b32 s11, 0xbfc55555
	v_fma_f64 v[8:9], v[15:16], v[19:20], -v[8:9]
	v_fma_f64 v[15:16], v[27:28], v[21:22], v[23:24]
	v_fma_f64 v[8:9], v[29:30], s[10:11], v[8:9]
	v_add_f64 v[15:16], v[25:26], v[15:16]
	v_add_f64 v[6:7], v[6:7], -v[8:9]
	v_and_b32_e32 v8, 1, v14
	v_cmp_eq_u32_e32 vcc_lo, 0, v8
	v_lshlrev_b32_e32 v8, 30, v14
	v_xor_b32_e32 v8, v8, v3
	v_and_b32_e32 v8, 0x80000000, v8
	v_cndmask_b32_e32 v7, v16, v7, vcc_lo
	v_cndmask_b32_e32 v6, v15, v6, vcc_lo
	v_xor_b32_e32 v7, v7, v8
	v_cndmask_b32_e64 v6, 0, v6, s1
	v_cndmask_b32_e64 v7, 0x7ff80000, v7, s1
	v_div_scale_f64 v[8:9], null, v[2:3], v[2:3], v[6:7]
	v_rcp_f64_e32 v[14:15], v[8:9]
	v_fma_f64 v[16:17], -v[8:9], v[14:15], 1.0
	v_fma_f64 v[14:15], v[14:15], v[16:17], v[14:15]
	v_fma_f64 v[16:17], -v[8:9], v[14:15], 1.0
	v_fma_f64 v[14:15], v[14:15], v[16:17], v[14:15]
	v_div_scale_f64 v[16:17], vcc_lo, v[6:7], v[2:3], v[6:7]
	v_mul_f64 v[19:20], v[16:17], v[14:15]
	v_fma_f64 v[8:9], -v[8:9], v[19:20], v[16:17]
	v_div_fmas_f64 v[8:9], v[8:9], v[14:15], v[19:20]
	v_div_fixup_f64 v[8:9], v[8:9], v[2:3], v[6:7]
                                        ; implicit-def: $vgpr2_vgpr3
.LBB3_101:
	s_andn2_saveexec_b32 s1, s5
	s_cbranch_execz .LBB3_103
; %bb.102:
	v_mul_f64 v[2:3], v[2:3], v[2:3]
	s_mov_b32 s10, 0x67f544e4
	s_mov_b32 s12, 0x13a86d09
	;; [unrolled: 1-line block ×4, first 2 shown]
	v_fma_f64 v[6:7], v[2:3], s[12:13], s[10:11]
	s_mov_b32 s10, 0xa556c734
	s_mov_b32 s11, 0x3ec71de3
	v_fma_f64 v[6:7], v[2:3], v[6:7], s[10:11]
	s_mov_b32 s10, 0x1a01a01a
	s_mov_b32 s11, 0xbf2a01a0
	;; [unrolled: 3-line block ×4, first 2 shown]
	v_fma_f64 v[6:7], v[2:3], v[6:7], s[10:11]
	v_fma_f64 v[8:9], v[2:3], v[6:7], 1.0
.LBB3_103:
	s_or_b32 exec_lo, exec_lo, s1
.LBB3_104:
	s_or_b32 exec_lo, exec_lo, s4
	s_or_b32 exec_lo, exec_lo, s3
	s_and_saveexec_b32 s1, s0
	s_xor_b32 s0, exec_lo, s1
	s_cbranch_execz .LBB3_89
.LBB3_105:
	v_mov_b32_e32 v2, 0
	v_lshlrev_b64 v[0:1], 3, v[1:2]
	v_add_co_u32 v2, vcc_lo, s8, v0
	v_add_co_ci_u32_e64 v3, null, s9, v1, vcc_lo
	v_mov_b32_e32 v0, v18
	global_store_dwordx2 v[2:3], v[4:5], off
	s_or_b32 exec_lo, exec_lo, s0
	s_mov_b32 s0, exec_lo
	v_cmpx_gt_i32_e64 s6, v0
	s_cbranch_execz .LBB3_90
.LBB3_106:
	v_add_nc_u32_e32 v1, s2, v0
	v_mov_b32_e32 v2, 0
	v_add_nc_u32_e32 v0, 0x100, v0
	v_lshlrev_b64 v[1:2], 3, v[1:2]
	v_add_co_u32 v1, vcc_lo, s8, v1
	v_add_co_ci_u32_e64 v2, null, s9, v2, vcc_lo
	global_store_dwordx2 v[1:2], v[12:13], off
	s_or_b32 exec_lo, exec_lo, s0
	s_mov_b32 s0, exec_lo
	v_cmpx_gt_i32_e64 s6, v0
	s_cbranch_execz .LBB3_91
.LBB3_107:
	v_add_nc_u32_e32 v1, s2, v0
	v_mov_b32_e32 v2, 0
	v_add_nc_u32_e32 v0, 0x100, v0
	v_lshlrev_b64 v[1:2], 3, v[1:2]
	v_add_co_u32 v1, vcc_lo, s8, v1
	v_add_co_ci_u32_e64 v2, null, s9, v2, vcc_lo
	global_store_dwordx2 v[1:2], v[10:11], off
	s_or_b32 exec_lo, exec_lo, s0
	s_mov_b32 s0, exec_lo
	v_cmpx_gt_i32_e64 s6, v0
	s_cbranch_execnz .LBB3_92
	s_branch .LBB3_93
	.section	.rodata,"a",@progbits
	.p2align	6, 0x0
	.amdhsa_kernel _ZN2at6native29vectorized_elementwise_kernelILi2EZZZNS0_12_GLOBAL__N_131spherical_bessel_j0_kernel_cudaERNS_18TensorIteratorBaseEENKUlvE_clEvENKUlvE_clEvEUldE_St5arrayIPcLm2EEEEviT0_T1_
		.amdhsa_group_segment_fixed_size 0
		.amdhsa_private_segment_fixed_size 0
		.amdhsa_kernarg_size 24
		.amdhsa_user_sgpr_count 6
		.amdhsa_user_sgpr_private_segment_buffer 1
		.amdhsa_user_sgpr_dispatch_ptr 0
		.amdhsa_user_sgpr_queue_ptr 0
		.amdhsa_user_sgpr_kernarg_segment_ptr 1
		.amdhsa_user_sgpr_dispatch_id 0
		.amdhsa_user_sgpr_flat_scratch_init 0
		.amdhsa_user_sgpr_private_segment_size 0
		.amdhsa_wavefront_size32 1
		.amdhsa_uses_dynamic_stack 0
		.amdhsa_system_sgpr_private_segment_wavefront_offset 0
		.amdhsa_system_sgpr_workgroup_id_x 1
		.amdhsa_system_sgpr_workgroup_id_y 0
		.amdhsa_system_sgpr_workgroup_id_z 0
		.amdhsa_system_sgpr_workgroup_info 0
		.amdhsa_system_vgpr_workitem_id 0
		.amdhsa_next_free_vgpr 46
		.amdhsa_next_free_sgpr 18
		.amdhsa_reserve_vcc 1
		.amdhsa_reserve_flat_scratch 0
		.amdhsa_float_round_mode_32 0
		.amdhsa_float_round_mode_16_64 0
		.amdhsa_float_denorm_mode_32 3
		.amdhsa_float_denorm_mode_16_64 3
		.amdhsa_dx10_clamp 1
		.amdhsa_ieee_mode 1
		.amdhsa_fp16_overflow 0
		.amdhsa_workgroup_processor_mode 1
		.amdhsa_memory_ordered 1
		.amdhsa_forward_progress 1
		.amdhsa_shared_vgpr_count 0
		.amdhsa_exception_fp_ieee_invalid_op 0
		.amdhsa_exception_fp_denorm_src 0
		.amdhsa_exception_fp_ieee_div_zero 0
		.amdhsa_exception_fp_ieee_overflow 0
		.amdhsa_exception_fp_ieee_underflow 0
		.amdhsa_exception_fp_ieee_inexact 0
		.amdhsa_exception_int_div_zero 0
	.end_amdhsa_kernel
	.section	.text._ZN2at6native29vectorized_elementwise_kernelILi2EZZZNS0_12_GLOBAL__N_131spherical_bessel_j0_kernel_cudaERNS_18TensorIteratorBaseEENKUlvE_clEvENKUlvE_clEvEUldE_St5arrayIPcLm2EEEEviT0_T1_,"axG",@progbits,_ZN2at6native29vectorized_elementwise_kernelILi2EZZZNS0_12_GLOBAL__N_131spherical_bessel_j0_kernel_cudaERNS_18TensorIteratorBaseEENKUlvE_clEvENKUlvE_clEvEUldE_St5arrayIPcLm2EEEEviT0_T1_,comdat
.Lfunc_end3:
	.size	_ZN2at6native29vectorized_elementwise_kernelILi2EZZZNS0_12_GLOBAL__N_131spherical_bessel_j0_kernel_cudaERNS_18TensorIteratorBaseEENKUlvE_clEvENKUlvE_clEvEUldE_St5arrayIPcLm2EEEEviT0_T1_, .Lfunc_end3-_ZN2at6native29vectorized_elementwise_kernelILi2EZZZNS0_12_GLOBAL__N_131spherical_bessel_j0_kernel_cudaERNS_18TensorIteratorBaseEENKUlvE_clEvENKUlvE_clEvEUldE_St5arrayIPcLm2EEEEviT0_T1_
                                        ; -- End function
	.set _ZN2at6native29vectorized_elementwise_kernelILi2EZZZNS0_12_GLOBAL__N_131spherical_bessel_j0_kernel_cudaERNS_18TensorIteratorBaseEENKUlvE_clEvENKUlvE_clEvEUldE_St5arrayIPcLm2EEEEviT0_T1_.num_vgpr, 46
	.set _ZN2at6native29vectorized_elementwise_kernelILi2EZZZNS0_12_GLOBAL__N_131spherical_bessel_j0_kernel_cudaERNS_18TensorIteratorBaseEENKUlvE_clEvENKUlvE_clEvEUldE_St5arrayIPcLm2EEEEviT0_T1_.num_agpr, 0
	.set _ZN2at6native29vectorized_elementwise_kernelILi2EZZZNS0_12_GLOBAL__N_131spherical_bessel_j0_kernel_cudaERNS_18TensorIteratorBaseEENKUlvE_clEvENKUlvE_clEvEUldE_St5arrayIPcLm2EEEEviT0_T1_.numbered_sgpr, 18
	.set _ZN2at6native29vectorized_elementwise_kernelILi2EZZZNS0_12_GLOBAL__N_131spherical_bessel_j0_kernel_cudaERNS_18TensorIteratorBaseEENKUlvE_clEvENKUlvE_clEvEUldE_St5arrayIPcLm2EEEEviT0_T1_.num_named_barrier, 0
	.set _ZN2at6native29vectorized_elementwise_kernelILi2EZZZNS0_12_GLOBAL__N_131spherical_bessel_j0_kernel_cudaERNS_18TensorIteratorBaseEENKUlvE_clEvENKUlvE_clEvEUldE_St5arrayIPcLm2EEEEviT0_T1_.private_seg_size, 0
	.set _ZN2at6native29vectorized_elementwise_kernelILi2EZZZNS0_12_GLOBAL__N_131spherical_bessel_j0_kernel_cudaERNS_18TensorIteratorBaseEENKUlvE_clEvENKUlvE_clEvEUldE_St5arrayIPcLm2EEEEviT0_T1_.uses_vcc, 1
	.set _ZN2at6native29vectorized_elementwise_kernelILi2EZZZNS0_12_GLOBAL__N_131spherical_bessel_j0_kernel_cudaERNS_18TensorIteratorBaseEENKUlvE_clEvENKUlvE_clEvEUldE_St5arrayIPcLm2EEEEviT0_T1_.uses_flat_scratch, 0
	.set _ZN2at6native29vectorized_elementwise_kernelILi2EZZZNS0_12_GLOBAL__N_131spherical_bessel_j0_kernel_cudaERNS_18TensorIteratorBaseEENKUlvE_clEvENKUlvE_clEvEUldE_St5arrayIPcLm2EEEEviT0_T1_.has_dyn_sized_stack, 0
	.set _ZN2at6native29vectorized_elementwise_kernelILi2EZZZNS0_12_GLOBAL__N_131spherical_bessel_j0_kernel_cudaERNS_18TensorIteratorBaseEENKUlvE_clEvENKUlvE_clEvEUldE_St5arrayIPcLm2EEEEviT0_T1_.has_recursion, 0
	.set _ZN2at6native29vectorized_elementwise_kernelILi2EZZZNS0_12_GLOBAL__N_131spherical_bessel_j0_kernel_cudaERNS_18TensorIteratorBaseEENKUlvE_clEvENKUlvE_clEvEUldE_St5arrayIPcLm2EEEEviT0_T1_.has_indirect_call, 0
	.section	.AMDGPU.csdata,"",@progbits
; Kernel info:
; codeLenInByte = 13664
; TotalNumSgprs: 20
; NumVgprs: 46
; ScratchSize: 0
; MemoryBound: 0
; FloatMode: 240
; IeeeMode: 1
; LDSByteSize: 0 bytes/workgroup (compile time only)
; SGPRBlocks: 0
; VGPRBlocks: 5
; NumSGPRsForWavesPerEU: 20
; NumVGPRsForWavesPerEU: 46
; Occupancy: 16
; WaveLimiterHint : 1
; COMPUTE_PGM_RSRC2:SCRATCH_EN: 0
; COMPUTE_PGM_RSRC2:USER_SGPR: 6
; COMPUTE_PGM_RSRC2:TRAP_HANDLER: 0
; COMPUTE_PGM_RSRC2:TGID_X_EN: 1
; COMPUTE_PGM_RSRC2:TGID_Y_EN: 0
; COMPUTE_PGM_RSRC2:TGID_Z_EN: 0
; COMPUTE_PGM_RSRC2:TIDIG_COMP_CNT: 0
	.section	.text._ZN2at6native27unrolled_elementwise_kernelIZZZNS0_12_GLOBAL__N_131spherical_bessel_j0_kernel_cudaERNS_18TensorIteratorBaseEENKUlvE_clEvENKUlvE_clEvEUldE_St5arrayIPcLm2EELi4E23TrivialOffsetCalculatorILi1EjESC_NS0_6memory15LoadWithoutCastENSD_16StoreWithoutCastEEEviT_T0_T2_T3_T4_T5_,"axG",@progbits,_ZN2at6native27unrolled_elementwise_kernelIZZZNS0_12_GLOBAL__N_131spherical_bessel_j0_kernel_cudaERNS_18TensorIteratorBaseEENKUlvE_clEvENKUlvE_clEvEUldE_St5arrayIPcLm2EELi4E23TrivialOffsetCalculatorILi1EjESC_NS0_6memory15LoadWithoutCastENSD_16StoreWithoutCastEEEviT_T0_T2_T3_T4_T5_,comdat
	.globl	_ZN2at6native27unrolled_elementwise_kernelIZZZNS0_12_GLOBAL__N_131spherical_bessel_j0_kernel_cudaERNS_18TensorIteratorBaseEENKUlvE_clEvENKUlvE_clEvEUldE_St5arrayIPcLm2EELi4E23TrivialOffsetCalculatorILi1EjESC_NS0_6memory15LoadWithoutCastENSD_16StoreWithoutCastEEEviT_T0_T2_T3_T4_T5_ ; -- Begin function _ZN2at6native27unrolled_elementwise_kernelIZZZNS0_12_GLOBAL__N_131spherical_bessel_j0_kernel_cudaERNS_18TensorIteratorBaseEENKUlvE_clEvENKUlvE_clEvEUldE_St5arrayIPcLm2EELi4E23TrivialOffsetCalculatorILi1EjESC_NS0_6memory15LoadWithoutCastENSD_16StoreWithoutCastEEEviT_T0_T2_T3_T4_T5_
	.p2align	8
	.type	_ZN2at6native27unrolled_elementwise_kernelIZZZNS0_12_GLOBAL__N_131spherical_bessel_j0_kernel_cudaERNS_18TensorIteratorBaseEENKUlvE_clEvENKUlvE_clEvEUldE_St5arrayIPcLm2EELi4E23TrivialOffsetCalculatorILi1EjESC_NS0_6memory15LoadWithoutCastENSD_16StoreWithoutCastEEEviT_T0_T2_T3_T4_T5_,@function
_ZN2at6native27unrolled_elementwise_kernelIZZZNS0_12_GLOBAL__N_131spherical_bessel_j0_kernel_cudaERNS_18TensorIteratorBaseEENKUlvE_clEvENKUlvE_clEvEUldE_St5arrayIPcLm2EELi4E23TrivialOffsetCalculatorILi1EjESC_NS0_6memory15LoadWithoutCastENSD_16StoreWithoutCastEEEviT_T0_T2_T3_T4_T5_: ; @_ZN2at6native27unrolled_elementwise_kernelIZZZNS0_12_GLOBAL__N_131spherical_bessel_j0_kernel_cudaERNS_18TensorIteratorBaseEENKUlvE_clEvENKUlvE_clEvEUldE_St5arrayIPcLm2EELi4E23TrivialOffsetCalculatorILi1EjESC_NS0_6memory15LoadWithoutCastENSD_16StoreWithoutCastEEEviT_T0_T2_T3_T4_T5_
; %bb.0:
	s_clause 0x1
	s_load_dword s0, s[4:5], 0x0
	s_load_dwordx4 s[8:11], s[4:5], 0x8
	s_lshl_b32 s2, s6, 10
	v_mov_b32_e32 v14, 0
	v_mov_b32_e32 v16, 0
	;; [unrolled: 1-line block ×4, first 2 shown]
	v_or_b32_e32 v1, s2, v0
	v_or_b32_e32 v18, 0x100, v0
	v_mov_b32_e32 v4, v0
	s_waitcnt lgkmcnt(0)
	s_sub_i32 s3, s0, s2
	v_cmp_gt_i32_e64 s0, s3, v0
	s_and_saveexec_b32 s1, s0
	s_cbranch_execz .LBB4_2
; %bb.1:
	v_mov_b32_e32 v2, 0
	v_or_b32_e32 v4, 0x100, v0
	v_lshlrev_b64 v[2:3], 3, v[1:2]
	v_add_co_u32 v2, vcc_lo, s10, v2
	v_add_co_ci_u32_e64 v3, null, s11, v3, vcc_lo
	global_load_dwordx2 v[16:17], v[2:3], off
.LBB4_2:
	s_or_b32 exec_lo, exec_lo, s1
	s_mov_b32 s1, exec_lo
	v_cmpx_gt_i32_e64 s3, v4
	s_cbranch_execz .LBB4_4
; %bb.3:
	v_add_nc_u32_e32 v2, s2, v4
	v_mov_b32_e32 v3, 0
	v_add_nc_u32_e32 v4, 0x100, v4
	v_lshlrev_b64 v[2:3], 3, v[2:3]
	v_add_co_u32 v2, vcc_lo, s10, v2
	v_add_co_ci_u32_e64 v3, null, s11, v3, vcc_lo
	global_load_dwordx2 v[14:15], v[2:3], off
.LBB4_4:
	s_or_b32 exec_lo, exec_lo, s1
	v_mov_b32_e32 v2, 0
	v_mov_b32_e32 v6, 0
	;; [unrolled: 1-line block ×4, first 2 shown]
	s_mov_b32 s1, exec_lo
	v_cmpx_gt_i32_e64 s3, v4
	s_cbranch_execz .LBB4_6
; %bb.5:
	v_add_nc_u32_e32 v5, s2, v4
	v_mov_b32_e32 v6, 0
	v_add_nc_u32_e32 v4, 0x100, v4
	v_lshlrev_b64 v[5:6], 3, v[5:6]
	v_add_co_u32 v5, vcc_lo, s10, v5
	v_add_co_ci_u32_e64 v6, null, s11, v6, vcc_lo
	global_load_dwordx2 v[6:7], v[5:6], off
.LBB4_6:
	s_or_b32 exec_lo, exec_lo, s1
	s_mov_b32 s1, exec_lo
	v_cmpx_gt_i32_e64 s3, v4
	s_cbranch_execz .LBB4_8
; %bb.7:
	v_add_nc_u32_e32 v2, s2, v4
	v_mov_b32_e32 v3, 0
	v_lshlrev_b64 v[2:3], 3, v[2:3]
	v_add_co_u32 v2, vcc_lo, s10, v2
	v_add_co_ci_u32_e64 v3, null, s11, v3, vcc_lo
	global_load_dwordx2 v[2:3], v[2:3], off
.LBB4_8:
	s_or_b32 exec_lo, exec_lo, s1
	v_mov_b32_e32 v4, 0
	v_mov_b32_e32 v5, v4
	;; [unrolled: 1-line block ×8, first 2 shown]
	s_and_saveexec_b32 s4, s0
	s_cbranch_execz .LBB4_20
; %bb.9:
	v_mov_b32_e32 v4, 0
	v_mov_b32_e32 v5, 0
	s_mov_b32 s5, exec_lo
	s_waitcnt vmcnt(0)
	v_cmpx_neq_f64_e64 0x7ff00000, |v[16:17]|
	s_cbranch_execz .LBB4_19
; %bb.10:
	s_mov_b32 s6, exec_lo
                                        ; implicit-def: $vgpr4_vgpr5
	v_cmpx_nlt_f64_e64 |v[16:17]|, 0.5
	s_xor_b32 s6, exec_lo, s6
	s_cbranch_execz .LBB4_16
; %bb.11:
	v_cmp_ngt_f64_e64 s1, 0x41d00000, |v[16:17]|
                                        ; implicit-def: $vgpr10
                                        ; implicit-def: $vgpr4_vgpr5
                                        ; implicit-def: $vgpr8_vgpr9
	s_and_saveexec_b32 s7, s1
	s_xor_b32 s1, exec_lo, s7
	s_cbranch_execz .LBB4_13
; %bb.12:
	v_ldexp_f64 v[4:5], |v[16:17]|, 0xffffff80
	v_cmp_le_f64_e64 vcc_lo, 0x7b000000, |v[16:17]|
	v_trig_preop_f64 v[8:9], |v[16:17]|, 0
	v_and_b32_e32 v10, 0x7fffffff, v17
	v_trig_preop_f64 v[25:26], |v[16:17]|, 2
	v_mov_b32_e32 v33, 0
	s_mov_b32 s10, 0x54442d18
	s_mov_b32 s11, 0x3ff921fb
	;; [unrolled: 1-line block ×4, first 2 shown]
	v_cndmask_b32_e32 v5, v10, v5, vcc_lo
	v_cndmask_b32_e32 v4, v16, v4, vcc_lo
	v_trig_preop_f64 v[10:11], |v[16:17]|, 1
	v_mul_f64 v[12:13], v[8:9], v[4:5]
	v_mul_f64 v[31:32], v[25:26], v[4:5]
	;; [unrolled: 1-line block ×3, first 2 shown]
	v_fma_f64 v[8:9], v[8:9], v[4:5], -v[12:13]
	v_fma_f64 v[10:11], v[10:11], v[4:5], -v[19:20]
	;; [unrolled: 1-line block ×3, first 2 shown]
	v_add_f64 v[21:22], v[19:20], v[8:9]
	v_add_f64 v[23:24], v[21:22], -v[19:20]
	v_add_f64 v[29:30], v[12:13], v[21:22]
	v_add_f64 v[27:28], v[21:22], -v[23:24]
	v_add_f64 v[8:9], v[8:9], -v[23:24]
	v_ldexp_f64 v[23:24], v[29:30], -2
	v_add_f64 v[12:13], v[29:30], -v[12:13]
	v_add_f64 v[19:20], v[19:20], -v[27:28]
	v_add_f64 v[27:28], v[31:32], v[10:11]
	v_cmp_neq_f64_e64 vcc_lo, 0x7ff00000, |v[23:24]|
	v_add_f64 v[12:13], v[21:22], -v[12:13]
	v_add_f64 v[8:9], v[8:9], v[19:20]
	v_fract_f64_e32 v[19:20], v[23:24]
	v_add_f64 v[21:22], v[27:28], v[8:9]
	v_ldexp_f64 v[19:20], v[19:20], 2
	v_add_f64 v[23:24], v[12:13], v[21:22]
	v_cndmask_b32_e32 v20, 0, v20, vcc_lo
	v_cndmask_b32_e32 v19, 0, v19, vcc_lo
	v_add_f64 v[29:30], v[23:24], v[19:20]
	v_add_f64 v[12:13], v[23:24], -v[12:13]
	v_cmp_gt_f64_e32 vcc_lo, 0, v[29:30]
	v_add_f64 v[29:30], v[27:28], -v[31:32]
	v_cndmask_b32_e64 v34, 0, 0x40100000, vcc_lo
	v_add_f64 v[38:39], v[27:28], -v[29:30]
	v_add_f64 v[10:11], v[10:11], -v[29:30]
	v_add_f64 v[19:20], v[19:20], v[33:34]
	v_add_f64 v[34:35], v[21:22], -v[27:28]
	v_add_f64 v[29:30], v[31:32], -v[38:39]
	v_add_f64 v[36:37], v[23:24], v[19:20]
	;; [unrolled: 3-line block ×3, first 2 shown]
	v_cvt_i32_f64_e32 v36, v[36:37]
	v_add_f64 v[27:28], v[27:28], -v[40:41]
	v_cvt_f64_i32_e32 v[34:35], v36
	v_add_f64 v[8:9], v[8:9], v[27:28]
	v_add_f64 v[19:20], v[19:20], -v[34:35]
	v_add_f64 v[8:9], v[10:11], v[8:9]
	v_add_f64 v[10:11], v[21:22], -v[12:13]
	v_add_f64 v[25:26], v[23:24], v[19:20]
	v_add_f64 v[4:5], v[4:5], v[8:9]
	v_add_f64 v[8:9], v[25:26], -v[19:20]
	v_cmp_le_f64_e32 vcc_lo, 0.5, v[25:26]
	v_add_f64 v[4:5], v[10:11], v[4:5]
	v_add_f64 v[8:9], v[23:24], -v[8:9]
	v_cndmask_b32_e64 v34, 0, 0x3ff00000, vcc_lo
	v_add_co_ci_u32_e64 v10, null, 0, v36, vcc_lo
	v_add_f64 v[4:5], v[4:5], v[8:9]
	v_add_f64 v[8:9], v[25:26], -v[33:34]
	v_add_f64 v[11:12], v[8:9], v[4:5]
	v_mul_f64 v[19:20], v[11:12], s[10:11]
	v_add_f64 v[8:9], v[11:12], -v[8:9]
	v_fma_f64 v[21:22], v[11:12], s[10:11], -v[19:20]
	v_add_f64 v[4:5], v[4:5], -v[8:9]
	v_fma_f64 v[8:9], v[11:12], s[12:13], v[21:22]
	v_fma_f64 v[8:9], v[4:5], s[10:11], v[8:9]
	v_add_f64 v[4:5], v[19:20], v[8:9]
	v_add_f64 v[11:12], v[4:5], -v[19:20]
	v_add_f64 v[8:9], v[8:9], -v[11:12]
.LBB4_13:
	s_andn2_saveexec_b32 s1, s1
	s_cbranch_execz .LBB4_15
; %bb.14:
	s_mov_b32 s10, 0x6dc9c883
	s_mov_b32 s11, 0x3fe45f30
	;; [unrolled: 1-line block ×3, first 2 shown]
	v_mul_f64 v[4:5], |v[16:17]|, s[10:11]
	s_mov_b32 s10, 0x54442d18
	s_mov_b32 s11, 0xbff921fb
	;; [unrolled: 1-line block ×3, first 2 shown]
	v_rndne_f64_e32 v[10:11], v[4:5]
	v_fma_f64 v[4:5], v[10:11], s[10:11], |v[16:17]|
	v_mul_f64 v[8:9], v[10:11], s[12:13]
	s_mov_b32 s10, 0x252049c0
	s_mov_b32 s11, 0xb97b839a
	v_fma_f64 v[19:20], v[10:11], s[12:13], v[4:5]
	v_add_f64 v[12:13], v[4:5], v[8:9]
	s_mov_b32 s13, 0x3c91a626
	v_add_f64 v[4:5], v[4:5], -v[12:13]
	v_add_f64 v[12:13], v[12:13], -v[19:20]
	v_add_f64 v[4:5], v[4:5], v[8:9]
	v_fma_f64 v[8:9], v[10:11], s[12:13], v[8:9]
	v_add_f64 v[4:5], v[12:13], v[4:5]
	v_add_f64 v[4:5], v[4:5], -v[8:9]
	v_fma_f64 v[8:9], v[10:11], s[10:11], v[4:5]
	v_cvt_i32_f64_e32 v10, v[10:11]
	v_add_f64 v[4:5], v[19:20], v[8:9]
	v_add_f64 v[12:13], v[4:5], -v[19:20]
	v_add_f64 v[8:9], v[8:9], -v[12:13]
.LBB4_15:
	s_or_b32 exec_lo, exec_lo, s1
	v_mul_f64 v[11:12], v[4:5], v[4:5]
	s_mov_b32 s10, 0xb42fdfa7
	s_mov_b32 s12, 0xf9a43bb8
	;; [unrolled: 1-line block ×6, first 2 shown]
	v_mul_f64 v[27:28], v[8:9], 0.5
	v_cmp_class_f64_e64 s1, v[16:17], 0x1f8
	v_fma_f64 v[19:20], v[11:12], s[12:13], s[10:11]
	s_mov_b32 s10, 0x9037ab78
	s_mov_b32 s12, 0x46cc5e42
	;; [unrolled: 1-line block ×4, first 2 shown]
	v_mul_f64 v[23:24], v[11:12], 0.5
	v_fma_f64 v[21:22], v[11:12], s[12:13], s[10:11]
	s_mov_b32 s10, 0xa17f65f6
	s_mov_b32 s12, 0x19e83e5c
	;; [unrolled: 1-line block ×4, first 2 shown]
	v_mul_f64 v[29:30], v[4:5], -v[11:12]
	v_fma_f64 v[19:20], v[11:12], v[19:20], s[14:15]
	v_add_f64 v[25:26], -v[23:24], 1.0
	v_fma_f64 v[21:22], v[11:12], v[21:22], s[10:11]
	s_mov_b32 s10, 0x19f4ec90
	s_mov_b32 s11, 0x3efa01a0
	v_fma_f64 v[19:20], v[11:12], v[19:20], s[12:13]
	s_mov_b32 s12, 0x11110bb3
	s_mov_b32 s13, 0x3f811111
	v_add_f64 v[31:32], -v[25:26], 1.0
	v_fma_f64 v[21:22], v[11:12], v[21:22], s[10:11]
	s_mov_b32 s10, 0x16c16967
	s_mov_b32 s11, 0xbf56c16c
	v_fma_f64 v[19:20], v[11:12], v[19:20], s[12:13]
	v_add_f64 v[23:24], v[31:32], -v[23:24]
	v_fma_f64 v[21:22], v[11:12], v[21:22], s[10:11]
	s_mov_b32 s11, 0x3fa55555
	s_mov_b32 s10, 0x55555555
	v_fma_f64 v[19:20], v[29:30], v[19:20], v[27:28]
	v_mul_f64 v[27:28], v[11:12], v[11:12]
	v_fma_f64 v[23:24], v[4:5], -v[8:9], v[23:24]
	v_fma_f64 v[21:22], v[11:12], v[21:22], s[10:11]
	s_mov_b32 s11, 0xbfc55555
	v_fma_f64 v[8:9], v[11:12], v[19:20], -v[8:9]
	v_fma_f64 v[11:12], v[27:28], v[21:22], v[23:24]
	v_fma_f64 v[8:9], v[29:30], s[10:11], v[8:9]
	v_add_f64 v[11:12], v[25:26], v[11:12]
	v_add_f64 v[4:5], v[4:5], -v[8:9]
	v_and_b32_e32 v8, 1, v10
	v_cmp_eq_u32_e32 vcc_lo, 0, v8
	v_lshlrev_b32_e32 v8, 30, v10
	v_xor_b32_e32 v8, v8, v17
	v_and_b32_e32 v8, 0x80000000, v8
	v_cndmask_b32_e32 v5, v12, v5, vcc_lo
	v_cndmask_b32_e32 v4, v11, v4, vcc_lo
	v_xor_b32_e32 v5, v5, v8
	v_cndmask_b32_e64 v4, 0, v4, s1
	v_cndmask_b32_e64 v5, 0x7ff80000, v5, s1
	v_div_scale_f64 v[8:9], null, v[16:17], v[16:17], v[4:5]
	v_rcp_f64_e32 v[10:11], v[8:9]
	v_fma_f64 v[12:13], -v[8:9], v[10:11], 1.0
	v_fma_f64 v[10:11], v[10:11], v[12:13], v[10:11]
	v_fma_f64 v[12:13], -v[8:9], v[10:11], 1.0
	v_fma_f64 v[10:11], v[10:11], v[12:13], v[10:11]
	v_div_scale_f64 v[12:13], vcc_lo, v[4:5], v[16:17], v[4:5]
	v_mul_f64 v[19:20], v[12:13], v[10:11]
	v_fma_f64 v[8:9], -v[8:9], v[19:20], v[12:13]
	v_div_fmas_f64 v[8:9], v[8:9], v[10:11], v[19:20]
	v_div_fixup_f64 v[4:5], v[8:9], v[16:17], v[4:5]
                                        ; implicit-def: $vgpr16_vgpr17
.LBB4_16:
	s_andn2_saveexec_b32 s1, s6
	s_cbranch_execz .LBB4_18
; %bb.17:
	v_mul_f64 v[4:5], v[16:17], v[16:17]
	s_mov_b32 s6, 0x67f544e4
	s_mov_b32 s10, 0x13a86d09
	;; [unrolled: 1-line block ×4, first 2 shown]
	v_fma_f64 v[8:9], v[4:5], s[10:11], s[6:7]
	s_mov_b32 s6, 0xa556c734
	s_mov_b32 s7, 0x3ec71de3
	v_fma_f64 v[8:9], v[4:5], v[8:9], s[6:7]
	s_mov_b32 s6, 0x1a01a01a
	s_mov_b32 s7, 0xbf2a01a0
	;; [unrolled: 3-line block ×4, first 2 shown]
	v_fma_f64 v[8:9], v[4:5], v[8:9], s[6:7]
	v_fma_f64 v[4:5], v[4:5], v[8:9], 1.0
.LBB4_18:
	s_or_b32 exec_lo, exec_lo, s1
.LBB4_19:
	s_or_b32 exec_lo, exec_lo, s5
	v_mov_b32_e32 v12, 0
	v_mov_b32_e32 v13, v12
	;; [unrolled: 1-line block ×6, first 2 shown]
.LBB4_20:
	s_or_b32 exec_lo, exec_lo, s4
	s_mov_b32 s4, exec_lo
	v_cmpx_gt_i32_e64 s3, v18
	s_cbranch_execz .LBB4_32
; %bb.21:
	v_mov_b32_e32 v12, 0
	v_mov_b32_e32 v13, 0
	s_mov_b32 s5, exec_lo
	s_waitcnt vmcnt(0)
	v_cmpx_neq_f64_e64 0x7ff00000, |v[14:15]|
	s_cbranch_execz .LBB4_31
; %bb.22:
	s_mov_b32 s6, exec_lo
	v_cmpx_nlt_f64_e64 |v[14:15]|, 0.5
	s_xor_b32 s6, exec_lo, s6
                                        ; implicit-def: $vgpr12_vgpr13
	s_cbranch_execz .LBB4_28
; %bb.23:
	v_cmp_ngt_f64_e64 s1, 0x41d00000, |v[14:15]|
                                        ; implicit-def: $vgpr19
                                        ; implicit-def: $vgpr12_vgpr13
                                        ; implicit-def: $vgpr16_vgpr17
	s_and_saveexec_b32 s7, s1
	s_xor_b32 s1, exec_lo, s7
	s_cbranch_execz .LBB4_25
; %bb.24:
	v_ldexp_f64 v[12:13], |v[14:15]|, 0xffffff80
	v_cmp_le_f64_e64 vcc_lo, 0x7b000000, |v[14:15]|
	v_trig_preop_f64 v[16:17], |v[14:15]|, 0
	v_and_b32_e32 v19, 0x7fffffff, v15
	v_trig_preop_f64 v[29:30], |v[14:15]|, 2
	v_mov_b32_e32 v37, 0
	s_mov_b32 s10, 0x54442d18
	s_mov_b32 s11, 0x3ff921fb
	;; [unrolled: 1-line block ×4, first 2 shown]
	v_cndmask_b32_e32 v13, v19, v13, vcc_lo
	v_cndmask_b32_e32 v12, v14, v12, vcc_lo
	v_trig_preop_f64 v[19:20], |v[14:15]|, 1
	v_mul_f64 v[21:22], v[16:17], v[12:13]
	v_mul_f64 v[35:36], v[29:30], v[12:13]
	v_mul_f64 v[23:24], v[19:20], v[12:13]
	v_fma_f64 v[16:17], v[16:17], v[12:13], -v[21:22]
	v_fma_f64 v[19:20], v[19:20], v[12:13], -v[23:24]
	;; [unrolled: 1-line block ×3, first 2 shown]
	v_add_f64 v[25:26], v[23:24], v[16:17]
	v_add_f64 v[27:28], v[25:26], -v[23:24]
	v_add_f64 v[33:34], v[21:22], v[25:26]
	v_add_f64 v[31:32], v[25:26], -v[27:28]
	v_add_f64 v[16:17], v[16:17], -v[27:28]
	v_ldexp_f64 v[27:28], v[33:34], -2
	v_add_f64 v[21:22], v[33:34], -v[21:22]
	v_add_f64 v[23:24], v[23:24], -v[31:32]
	v_add_f64 v[31:32], v[35:36], v[19:20]
	v_cmp_neq_f64_e64 vcc_lo, 0x7ff00000, |v[27:28]|
	v_add_f64 v[21:22], v[25:26], -v[21:22]
	v_add_f64 v[16:17], v[16:17], v[23:24]
	v_fract_f64_e32 v[23:24], v[27:28]
	v_add_f64 v[25:26], v[31:32], v[16:17]
	v_ldexp_f64 v[23:24], v[23:24], 2
	v_add_f64 v[27:28], v[21:22], v[25:26]
	v_cndmask_b32_e32 v24, 0, v24, vcc_lo
	v_cndmask_b32_e32 v23, 0, v23, vcc_lo
	v_add_f64 v[33:34], v[27:28], v[23:24]
	v_add_f64 v[21:22], v[27:28], -v[21:22]
	v_cmp_gt_f64_e32 vcc_lo, 0, v[33:34]
	v_add_f64 v[33:34], v[31:32], -v[35:36]
	v_cndmask_b32_e64 v38, 0, 0x40100000, vcc_lo
	v_add_f64 v[42:43], v[31:32], -v[33:34]
	v_add_f64 v[19:20], v[19:20], -v[33:34]
	v_add_f64 v[23:24], v[23:24], v[37:38]
	v_add_f64 v[38:39], v[25:26], -v[31:32]
	v_add_f64 v[33:34], v[35:36], -v[42:43]
	v_add_f64 v[40:41], v[27:28], v[23:24]
	;; [unrolled: 3-line block ×3, first 2 shown]
	v_cvt_i32_f64_e32 v40, v[40:41]
	v_add_f64 v[31:32], v[31:32], -v[44:45]
	v_cvt_f64_i32_e32 v[38:39], v40
	v_add_f64 v[16:17], v[16:17], v[31:32]
	v_add_f64 v[23:24], v[23:24], -v[38:39]
	v_add_f64 v[16:17], v[19:20], v[16:17]
	v_add_f64 v[19:20], v[25:26], -v[21:22]
	v_add_f64 v[29:30], v[27:28], v[23:24]
	v_add_f64 v[12:13], v[12:13], v[16:17]
	v_add_f64 v[16:17], v[29:30], -v[23:24]
	v_cmp_le_f64_e32 vcc_lo, 0.5, v[29:30]
	v_add_f64 v[12:13], v[19:20], v[12:13]
	v_add_f64 v[16:17], v[27:28], -v[16:17]
	v_cndmask_b32_e64 v38, 0, 0x3ff00000, vcc_lo
	v_add_co_ci_u32_e64 v19, null, 0, v40, vcc_lo
	v_add_f64 v[12:13], v[12:13], v[16:17]
	v_add_f64 v[16:17], v[29:30], -v[37:38]
	v_add_f64 v[20:21], v[16:17], v[12:13]
	v_mul_f64 v[22:23], v[20:21], s[10:11]
	v_add_f64 v[16:17], v[20:21], -v[16:17]
	v_fma_f64 v[24:25], v[20:21], s[10:11], -v[22:23]
	v_add_f64 v[12:13], v[12:13], -v[16:17]
	v_fma_f64 v[16:17], v[20:21], s[12:13], v[24:25]
	v_fma_f64 v[16:17], v[12:13], s[10:11], v[16:17]
	v_add_f64 v[12:13], v[22:23], v[16:17]
	v_add_f64 v[20:21], v[12:13], -v[22:23]
	v_add_f64 v[16:17], v[16:17], -v[20:21]
.LBB4_25:
	s_andn2_saveexec_b32 s1, s1
	s_cbranch_execz .LBB4_27
; %bb.26:
	s_mov_b32 s10, 0x6dc9c883
	s_mov_b32 s11, 0x3fe45f30
	;; [unrolled: 1-line block ×3, first 2 shown]
	v_mul_f64 v[12:13], |v[14:15]|, s[10:11]
	s_mov_b32 s10, 0x54442d18
	s_mov_b32 s11, 0xbff921fb
	;; [unrolled: 1-line block ×3, first 2 shown]
	v_rndne_f64_e32 v[19:20], v[12:13]
	v_fma_f64 v[12:13], v[19:20], s[10:11], |v[14:15]|
	v_mul_f64 v[16:17], v[19:20], s[12:13]
	s_mov_b32 s10, 0x252049c0
	s_mov_b32 s11, 0xb97b839a
	v_fma_f64 v[23:24], v[19:20], s[12:13], v[12:13]
	v_add_f64 v[21:22], v[12:13], v[16:17]
	s_mov_b32 s13, 0x3c91a626
	v_add_f64 v[12:13], v[12:13], -v[21:22]
	v_add_f64 v[21:22], v[21:22], -v[23:24]
	v_add_f64 v[12:13], v[12:13], v[16:17]
	v_fma_f64 v[16:17], v[19:20], s[12:13], v[16:17]
	v_add_f64 v[12:13], v[21:22], v[12:13]
	v_add_f64 v[12:13], v[12:13], -v[16:17]
	v_fma_f64 v[16:17], v[19:20], s[10:11], v[12:13]
	v_cvt_i32_f64_e32 v19, v[19:20]
	v_add_f64 v[12:13], v[23:24], v[16:17]
	v_add_f64 v[21:22], v[12:13], -v[23:24]
	v_add_f64 v[16:17], v[16:17], -v[21:22]
.LBB4_27:
	s_or_b32 exec_lo, exec_lo, s1
	v_mul_f64 v[20:21], v[12:13], v[12:13]
	s_mov_b32 s10, 0xb42fdfa7
	s_mov_b32 s12, 0xf9a43bb8
	;; [unrolled: 1-line block ×6, first 2 shown]
	v_mul_f64 v[30:31], v[16:17], 0.5
	v_cmp_class_f64_e64 s1, v[14:15], 0x1f8
	v_fma_f64 v[22:23], v[20:21], s[12:13], s[10:11]
	s_mov_b32 s10, 0x9037ab78
	s_mov_b32 s12, 0x46cc5e42
	;; [unrolled: 1-line block ×4, first 2 shown]
	v_mul_f64 v[26:27], v[20:21], 0.5
	v_fma_f64 v[24:25], v[20:21], s[12:13], s[10:11]
	s_mov_b32 s10, 0xa17f65f6
	s_mov_b32 s12, 0x19e83e5c
	;; [unrolled: 1-line block ×4, first 2 shown]
	v_mul_f64 v[32:33], v[12:13], -v[20:21]
	v_fma_f64 v[22:23], v[20:21], v[22:23], s[14:15]
	v_add_f64 v[28:29], -v[26:27], 1.0
	v_fma_f64 v[24:25], v[20:21], v[24:25], s[10:11]
	s_mov_b32 s10, 0x19f4ec90
	s_mov_b32 s11, 0x3efa01a0
	v_fma_f64 v[22:23], v[20:21], v[22:23], s[12:13]
	s_mov_b32 s12, 0x11110bb3
	s_mov_b32 s13, 0x3f811111
	v_add_f64 v[34:35], -v[28:29], 1.0
	v_fma_f64 v[24:25], v[20:21], v[24:25], s[10:11]
	s_mov_b32 s10, 0x16c16967
	s_mov_b32 s11, 0xbf56c16c
	v_fma_f64 v[22:23], v[20:21], v[22:23], s[12:13]
	v_add_f64 v[26:27], v[34:35], -v[26:27]
	v_fma_f64 v[24:25], v[20:21], v[24:25], s[10:11]
	s_mov_b32 s11, 0x3fa55555
	s_mov_b32 s10, 0x55555555
	v_fma_f64 v[22:23], v[32:33], v[22:23], v[30:31]
	v_mul_f64 v[30:31], v[20:21], v[20:21]
	v_fma_f64 v[26:27], v[12:13], -v[16:17], v[26:27]
	v_fma_f64 v[24:25], v[20:21], v[24:25], s[10:11]
	s_mov_b32 s11, 0xbfc55555
	v_fma_f64 v[16:17], v[20:21], v[22:23], -v[16:17]
	v_fma_f64 v[20:21], v[30:31], v[24:25], v[26:27]
	v_fma_f64 v[16:17], v[32:33], s[10:11], v[16:17]
	v_add_f64 v[20:21], v[28:29], v[20:21]
	v_add_f64 v[12:13], v[12:13], -v[16:17]
	v_and_b32_e32 v16, 1, v19
	v_cmp_eq_u32_e32 vcc_lo, 0, v16
	v_lshlrev_b32_e32 v16, 30, v19
	v_xor_b32_e32 v16, v16, v15
	v_and_b32_e32 v16, 0x80000000, v16
	v_cndmask_b32_e32 v13, v21, v13, vcc_lo
	v_cndmask_b32_e32 v12, v20, v12, vcc_lo
	v_xor_b32_e32 v13, v13, v16
	v_cndmask_b32_e64 v12, 0, v12, s1
	v_cndmask_b32_e64 v13, 0x7ff80000, v13, s1
	v_div_scale_f64 v[16:17], null, v[14:15], v[14:15], v[12:13]
	v_rcp_f64_e32 v[19:20], v[16:17]
	v_fma_f64 v[21:22], -v[16:17], v[19:20], 1.0
	v_fma_f64 v[19:20], v[19:20], v[21:22], v[19:20]
	v_fma_f64 v[21:22], -v[16:17], v[19:20], 1.0
	v_fma_f64 v[19:20], v[19:20], v[21:22], v[19:20]
	v_div_scale_f64 v[21:22], vcc_lo, v[12:13], v[14:15], v[12:13]
	v_mul_f64 v[23:24], v[21:22], v[19:20]
	v_fma_f64 v[16:17], -v[16:17], v[23:24], v[21:22]
	v_div_fmas_f64 v[16:17], v[16:17], v[19:20], v[23:24]
	v_div_fixup_f64 v[12:13], v[16:17], v[14:15], v[12:13]
                                        ; implicit-def: $vgpr14_vgpr15
.LBB4_28:
	s_andn2_saveexec_b32 s1, s6
	s_cbranch_execz .LBB4_30
; %bb.29:
	v_mul_f64 v[12:13], v[14:15], v[14:15]
	s_mov_b32 s6, 0x67f544e4
	s_mov_b32 s10, 0x13a86d09
	;; [unrolled: 1-line block ×4, first 2 shown]
	v_fma_f64 v[14:15], v[12:13], s[10:11], s[6:7]
	s_mov_b32 s6, 0xa556c734
	s_mov_b32 s7, 0x3ec71de3
	v_fma_f64 v[14:15], v[12:13], v[14:15], s[6:7]
	s_mov_b32 s6, 0x1a01a01a
	s_mov_b32 s7, 0xbf2a01a0
	v_fma_f64 v[14:15], v[12:13], v[14:15], s[6:7]
	s_mov_b32 s6, 0x11111111
	s_mov_b32 s7, 0x3f811111
	v_fma_f64 v[14:15], v[12:13], v[14:15], s[6:7]
	s_mov_b32 s6, 0x55555555
	s_mov_b32 s7, 0xbfc55555
	v_fma_f64 v[14:15], v[12:13], v[14:15], s[6:7]
	v_fma_f64 v[12:13], v[12:13], v[14:15], 1.0
.LBB4_30:
	s_or_b32 exec_lo, exec_lo, s1
.LBB4_31:
	s_or_b32 exec_lo, exec_lo, s5
.LBB4_32:
	s_or_b32 exec_lo, exec_lo, s4
	s_waitcnt vmcnt(0)
	v_or_b32_e32 v14, 0x200, v0
	s_mov_b32 s4, exec_lo
	v_cmpx_gt_i32_e64 s3, v14
	s_cbranch_execz .LBB4_44
; %bb.33:
	v_mov_b32_e32 v10, 0
	v_mov_b32_e32 v11, 0
	s_mov_b32 s5, exec_lo
	v_cmpx_neq_f64_e64 0x7ff00000, |v[6:7]|
	s_cbranch_execz .LBB4_43
; %bb.34:
	s_mov_b32 s6, exec_lo
	v_cmpx_nlt_f64_e64 |v[6:7]|, 0.5
	s_xor_b32 s6, exec_lo, s6
                                        ; implicit-def: $vgpr10_vgpr11
	s_cbranch_execz .LBB4_40
; %bb.35:
	v_cmp_ngt_f64_e64 s1, 0x41d00000, |v[6:7]|
                                        ; implicit-def: $vgpr16
                                        ; implicit-def: $vgpr10_vgpr11
                                        ; implicit-def: $vgpr14_vgpr15
	s_and_saveexec_b32 s7, s1
	s_xor_b32 s1, exec_lo, s7
	s_cbranch_execz .LBB4_37
; %bb.36:
	v_ldexp_f64 v[10:11], |v[6:7]|, 0xffffff80
	v_cmp_le_f64_e64 vcc_lo, 0x7b000000, |v[6:7]|
	v_trig_preop_f64 v[14:15], |v[6:7]|, 0
	v_and_b32_e32 v16, 0x7fffffff, v7
	v_trig_preop_f64 v[27:28], |v[6:7]|, 2
	v_mov_b32_e32 v35, 0
	s_mov_b32 s10, 0x54442d18
	s_mov_b32 s11, 0x3ff921fb
	;; [unrolled: 1-line block ×4, first 2 shown]
	v_cndmask_b32_e32 v11, v16, v11, vcc_lo
	v_cndmask_b32_e32 v10, v6, v10, vcc_lo
	v_trig_preop_f64 v[16:17], |v[6:7]|, 1
	v_mul_f64 v[19:20], v[14:15], v[10:11]
	v_mul_f64 v[33:34], v[27:28], v[10:11]
	;; [unrolled: 1-line block ×3, first 2 shown]
	v_fma_f64 v[14:15], v[14:15], v[10:11], -v[19:20]
	v_fma_f64 v[16:17], v[16:17], v[10:11], -v[21:22]
	;; [unrolled: 1-line block ×3, first 2 shown]
	v_add_f64 v[23:24], v[21:22], v[14:15]
	v_add_f64 v[25:26], v[23:24], -v[21:22]
	v_add_f64 v[31:32], v[19:20], v[23:24]
	v_add_f64 v[29:30], v[23:24], -v[25:26]
	v_add_f64 v[14:15], v[14:15], -v[25:26]
	v_ldexp_f64 v[25:26], v[31:32], -2
	v_add_f64 v[19:20], v[31:32], -v[19:20]
	v_add_f64 v[21:22], v[21:22], -v[29:30]
	v_add_f64 v[29:30], v[33:34], v[16:17]
	v_cmp_neq_f64_e64 vcc_lo, 0x7ff00000, |v[25:26]|
	v_add_f64 v[19:20], v[23:24], -v[19:20]
	v_add_f64 v[14:15], v[14:15], v[21:22]
	v_fract_f64_e32 v[21:22], v[25:26]
	v_add_f64 v[23:24], v[29:30], v[14:15]
	v_ldexp_f64 v[21:22], v[21:22], 2
	v_add_f64 v[25:26], v[19:20], v[23:24]
	v_cndmask_b32_e32 v22, 0, v22, vcc_lo
	v_cndmask_b32_e32 v21, 0, v21, vcc_lo
	v_add_f64 v[31:32], v[25:26], v[21:22]
	v_add_f64 v[19:20], v[25:26], -v[19:20]
	v_cmp_gt_f64_e32 vcc_lo, 0, v[31:32]
	v_add_f64 v[31:32], v[29:30], -v[33:34]
	v_cndmask_b32_e64 v36, 0, 0x40100000, vcc_lo
	v_add_f64 v[40:41], v[29:30], -v[31:32]
	v_add_f64 v[16:17], v[16:17], -v[31:32]
	v_add_f64 v[21:22], v[21:22], v[35:36]
	v_add_f64 v[36:37], v[23:24], -v[29:30]
	v_add_f64 v[31:32], v[33:34], -v[40:41]
	v_add_f64 v[38:39], v[25:26], v[21:22]
	;; [unrolled: 3-line block ×3, first 2 shown]
	v_cvt_i32_f64_e32 v38, v[38:39]
	v_add_f64 v[29:30], v[29:30], -v[42:43]
	v_cvt_f64_i32_e32 v[36:37], v38
	v_add_f64 v[14:15], v[14:15], v[29:30]
	v_add_f64 v[21:22], v[21:22], -v[36:37]
	v_add_f64 v[14:15], v[16:17], v[14:15]
	v_add_f64 v[16:17], v[23:24], -v[19:20]
	v_add_f64 v[27:28], v[25:26], v[21:22]
	v_add_f64 v[10:11], v[10:11], v[14:15]
	v_add_f64 v[14:15], v[27:28], -v[21:22]
	v_cmp_le_f64_e32 vcc_lo, 0.5, v[27:28]
	v_add_f64 v[10:11], v[16:17], v[10:11]
	v_add_f64 v[14:15], v[25:26], -v[14:15]
	v_cndmask_b32_e64 v36, 0, 0x3ff00000, vcc_lo
	v_add_co_ci_u32_e64 v16, null, 0, v38, vcc_lo
	v_add_f64 v[10:11], v[10:11], v[14:15]
	v_add_f64 v[14:15], v[27:28], -v[35:36]
	v_add_f64 v[19:20], v[14:15], v[10:11]
	v_mul_f64 v[21:22], v[19:20], s[10:11]
	v_add_f64 v[14:15], v[19:20], -v[14:15]
	v_fma_f64 v[23:24], v[19:20], s[10:11], -v[21:22]
	v_add_f64 v[10:11], v[10:11], -v[14:15]
	v_fma_f64 v[14:15], v[19:20], s[12:13], v[23:24]
	v_fma_f64 v[14:15], v[10:11], s[10:11], v[14:15]
	v_add_f64 v[10:11], v[21:22], v[14:15]
	v_add_f64 v[19:20], v[10:11], -v[21:22]
	v_add_f64 v[14:15], v[14:15], -v[19:20]
.LBB4_37:
	s_andn2_saveexec_b32 s1, s1
	s_cbranch_execz .LBB4_39
; %bb.38:
	s_mov_b32 s10, 0x6dc9c883
	s_mov_b32 s11, 0x3fe45f30
	;; [unrolled: 1-line block ×3, first 2 shown]
	v_mul_f64 v[10:11], |v[6:7]|, s[10:11]
	s_mov_b32 s10, 0x54442d18
	s_mov_b32 s11, 0xbff921fb
	;; [unrolled: 1-line block ×3, first 2 shown]
	v_rndne_f64_e32 v[16:17], v[10:11]
	v_fma_f64 v[10:11], v[16:17], s[10:11], |v[6:7]|
	v_mul_f64 v[14:15], v[16:17], s[12:13]
	s_mov_b32 s10, 0x252049c0
	s_mov_b32 s11, 0xb97b839a
	v_fma_f64 v[21:22], v[16:17], s[12:13], v[10:11]
	v_add_f64 v[19:20], v[10:11], v[14:15]
	s_mov_b32 s13, 0x3c91a626
	v_add_f64 v[10:11], v[10:11], -v[19:20]
	v_add_f64 v[19:20], v[19:20], -v[21:22]
	v_add_f64 v[10:11], v[10:11], v[14:15]
	v_fma_f64 v[14:15], v[16:17], s[12:13], v[14:15]
	v_add_f64 v[10:11], v[19:20], v[10:11]
	v_add_f64 v[10:11], v[10:11], -v[14:15]
	v_fma_f64 v[14:15], v[16:17], s[10:11], v[10:11]
	v_cvt_i32_f64_e32 v16, v[16:17]
	v_add_f64 v[10:11], v[21:22], v[14:15]
	v_add_f64 v[19:20], v[10:11], -v[21:22]
	v_add_f64 v[14:15], v[14:15], -v[19:20]
.LBB4_39:
	s_or_b32 exec_lo, exec_lo, s1
	v_mul_f64 v[19:20], v[10:11], v[10:11]
	s_mov_b32 s10, 0xb42fdfa7
	s_mov_b32 s12, 0xf9a43bb8
	s_mov_b32 s11, 0xbe5ae600
	s_mov_b32 s13, 0x3de5e0b2
	s_mov_b32 s14, 0x796cde01
	s_mov_b32 s15, 0x3ec71de3
	v_mul_f64 v[29:30], v[14:15], 0.5
	v_cmp_class_f64_e64 s1, v[6:7], 0x1f8
	v_fma_f64 v[21:22], v[19:20], s[12:13], s[10:11]
	s_mov_b32 s10, 0x9037ab78
	s_mov_b32 s12, 0x46cc5e42
	;; [unrolled: 1-line block ×4, first 2 shown]
	v_mul_f64 v[25:26], v[19:20], 0.5
	v_fma_f64 v[23:24], v[19:20], s[12:13], s[10:11]
	s_mov_b32 s10, 0xa17f65f6
	s_mov_b32 s12, 0x19e83e5c
	;; [unrolled: 1-line block ×4, first 2 shown]
	v_mul_f64 v[31:32], v[10:11], -v[19:20]
	v_fma_f64 v[21:22], v[19:20], v[21:22], s[14:15]
	v_add_f64 v[27:28], -v[25:26], 1.0
	v_fma_f64 v[23:24], v[19:20], v[23:24], s[10:11]
	s_mov_b32 s10, 0x19f4ec90
	s_mov_b32 s11, 0x3efa01a0
	v_fma_f64 v[21:22], v[19:20], v[21:22], s[12:13]
	s_mov_b32 s12, 0x11110bb3
	s_mov_b32 s13, 0x3f811111
	v_add_f64 v[33:34], -v[27:28], 1.0
	v_fma_f64 v[23:24], v[19:20], v[23:24], s[10:11]
	s_mov_b32 s10, 0x16c16967
	s_mov_b32 s11, 0xbf56c16c
	v_fma_f64 v[21:22], v[19:20], v[21:22], s[12:13]
	v_add_f64 v[25:26], v[33:34], -v[25:26]
	v_fma_f64 v[23:24], v[19:20], v[23:24], s[10:11]
	s_mov_b32 s11, 0x3fa55555
	s_mov_b32 s10, 0x55555555
	v_fma_f64 v[21:22], v[31:32], v[21:22], v[29:30]
	v_mul_f64 v[29:30], v[19:20], v[19:20]
	v_fma_f64 v[25:26], v[10:11], -v[14:15], v[25:26]
	v_fma_f64 v[23:24], v[19:20], v[23:24], s[10:11]
	s_mov_b32 s11, 0xbfc55555
	v_fma_f64 v[14:15], v[19:20], v[21:22], -v[14:15]
	v_fma_f64 v[19:20], v[29:30], v[23:24], v[25:26]
	v_fma_f64 v[14:15], v[31:32], s[10:11], v[14:15]
	v_add_f64 v[19:20], v[27:28], v[19:20]
	v_add_f64 v[10:11], v[10:11], -v[14:15]
	v_and_b32_e32 v14, 1, v16
	v_cmp_eq_u32_e32 vcc_lo, 0, v14
	v_lshlrev_b32_e32 v14, 30, v16
	v_xor_b32_e32 v14, v14, v7
	v_and_b32_e32 v14, 0x80000000, v14
	v_cndmask_b32_e32 v11, v20, v11, vcc_lo
	v_cndmask_b32_e32 v10, v19, v10, vcc_lo
	v_xor_b32_e32 v11, v11, v14
	v_cndmask_b32_e64 v10, 0, v10, s1
	v_cndmask_b32_e64 v11, 0x7ff80000, v11, s1
	v_div_scale_f64 v[14:15], null, v[6:7], v[6:7], v[10:11]
	v_rcp_f64_e32 v[16:17], v[14:15]
	v_fma_f64 v[19:20], -v[14:15], v[16:17], 1.0
	v_fma_f64 v[16:17], v[16:17], v[19:20], v[16:17]
	v_fma_f64 v[19:20], -v[14:15], v[16:17], 1.0
	v_fma_f64 v[16:17], v[16:17], v[19:20], v[16:17]
	v_div_scale_f64 v[19:20], vcc_lo, v[10:11], v[6:7], v[10:11]
	v_mul_f64 v[21:22], v[19:20], v[16:17]
	v_fma_f64 v[14:15], -v[14:15], v[21:22], v[19:20]
	v_div_fmas_f64 v[14:15], v[14:15], v[16:17], v[21:22]
	v_div_fixup_f64 v[10:11], v[14:15], v[6:7], v[10:11]
                                        ; implicit-def: $vgpr6_vgpr7
.LBB4_40:
	s_andn2_saveexec_b32 s1, s6
	s_cbranch_execz .LBB4_42
; %bb.41:
	v_mul_f64 v[6:7], v[6:7], v[6:7]
	s_mov_b32 s6, 0x67f544e4
	s_mov_b32 s10, 0x13a86d09
	s_mov_b32 s7, 0xbe5ae645
	s_mov_b32 s11, 0x3de61246
	v_fma_f64 v[10:11], v[6:7], s[10:11], s[6:7]
	s_mov_b32 s6, 0xa556c734
	s_mov_b32 s7, 0x3ec71de3
	v_fma_f64 v[10:11], v[6:7], v[10:11], s[6:7]
	s_mov_b32 s6, 0x1a01a01a
	s_mov_b32 s7, 0xbf2a01a0
	;; [unrolled: 3-line block ×4, first 2 shown]
	v_fma_f64 v[10:11], v[6:7], v[10:11], s[6:7]
	v_fma_f64 v[10:11], v[6:7], v[10:11], 1.0
.LBB4_42:
	s_or_b32 exec_lo, exec_lo, s1
.LBB4_43:
	s_or_b32 exec_lo, exec_lo, s5
.LBB4_44:
	s_or_b32 exec_lo, exec_lo, s4
	v_or_b32_e32 v6, 0x300, v0
	s_mov_b32 s4, exec_lo
	v_cmpx_gt_i32_e64 s3, v6
	s_cbranch_execnz .LBB4_50
; %bb.45:
	s_or_b32 exec_lo, exec_lo, s4
	s_and_saveexec_b32 s1, s0
	s_xor_b32 s0, exec_lo, s1
	s_cbranch_execnz .LBB4_61
.LBB4_46:
	s_or_b32 exec_lo, exec_lo, s0
	s_mov_b32 s0, exec_lo
	v_cmpx_gt_i32_e64 s3, v0
	s_cbranch_execnz .LBB4_62
.LBB4_47:
	s_or_b32 exec_lo, exec_lo, s0
	s_mov_b32 s0, exec_lo
	v_cmpx_gt_i32_e64 s3, v0
	s_cbranch_execnz .LBB4_63
.LBB4_48:
	s_or_b32 exec_lo, exec_lo, s0
	s_mov_b32 s0, exec_lo
	v_cmpx_gt_i32_e64 s3, v0
	s_cbranch_execnz .LBB4_64
.LBB4_49:
	s_endpgm
.LBB4_50:
	v_mov_b32_e32 v8, 0
	v_mov_b32_e32 v9, 0
	s_mov_b32 s5, exec_lo
	v_cmpx_neq_f64_e64 0x7ff00000, |v[2:3]|
	s_cbranch_execz .LBB4_60
; %bb.51:
	s_mov_b32 s6, exec_lo
	v_cmpx_nlt_f64_e64 |v[2:3]|, 0.5
	s_xor_b32 s6, exec_lo, s6
                                        ; implicit-def: $vgpr8_vgpr9
	s_cbranch_execz .LBB4_57
; %bb.52:
	v_cmp_ngt_f64_e64 s1, 0x41d00000, |v[2:3]|
                                        ; implicit-def: $vgpr14
                                        ; implicit-def: $vgpr6_vgpr7
                                        ; implicit-def: $vgpr8_vgpr9
	s_and_saveexec_b32 s7, s1
	s_xor_b32 s1, exec_lo, s7
	s_cbranch_execz .LBB4_54
; %bb.53:
	v_ldexp_f64 v[6:7], |v[2:3]|, 0xffffff80
	v_cmp_le_f64_e64 vcc_lo, 0x7b000000, |v[2:3]|
	v_trig_preop_f64 v[8:9], |v[2:3]|, 0
	v_and_b32_e32 v14, 0x7fffffff, v3
	v_trig_preop_f64 v[25:26], |v[2:3]|, 2
	v_mov_b32_e32 v33, 0
	s_mov_b32 s10, 0x54442d18
	s_mov_b32 s11, 0x3ff921fb
	s_mov_b32 s12, 0x33145c07
	s_mov_b32 s13, 0x3c91a626
	v_cndmask_b32_e32 v7, v14, v7, vcc_lo
	v_cndmask_b32_e32 v6, v2, v6, vcc_lo
	v_trig_preop_f64 v[14:15], |v[2:3]|, 1
	v_mul_f64 v[16:17], v[8:9], v[6:7]
	v_mul_f64 v[31:32], v[25:26], v[6:7]
	;; [unrolled: 1-line block ×3, first 2 shown]
	v_fma_f64 v[8:9], v[8:9], v[6:7], -v[16:17]
	v_fma_f64 v[14:15], v[14:15], v[6:7], -v[19:20]
	v_fma_f64 v[6:7], v[25:26], v[6:7], -v[31:32]
	v_add_f64 v[21:22], v[19:20], v[8:9]
	v_add_f64 v[23:24], v[21:22], -v[19:20]
	v_add_f64 v[29:30], v[16:17], v[21:22]
	v_add_f64 v[27:28], v[21:22], -v[23:24]
	v_add_f64 v[8:9], v[8:9], -v[23:24]
	v_ldexp_f64 v[23:24], v[29:30], -2
	v_add_f64 v[16:17], v[29:30], -v[16:17]
	v_add_f64 v[19:20], v[19:20], -v[27:28]
	v_add_f64 v[27:28], v[31:32], v[14:15]
	v_cmp_neq_f64_e64 vcc_lo, 0x7ff00000, |v[23:24]|
	v_add_f64 v[16:17], v[21:22], -v[16:17]
	v_add_f64 v[8:9], v[8:9], v[19:20]
	v_fract_f64_e32 v[19:20], v[23:24]
	v_add_f64 v[21:22], v[27:28], v[8:9]
	v_ldexp_f64 v[19:20], v[19:20], 2
	v_add_f64 v[23:24], v[16:17], v[21:22]
	v_cndmask_b32_e32 v20, 0, v20, vcc_lo
	v_cndmask_b32_e32 v19, 0, v19, vcc_lo
	v_add_f64 v[29:30], v[23:24], v[19:20]
	v_add_f64 v[16:17], v[23:24], -v[16:17]
	v_cmp_gt_f64_e32 vcc_lo, 0, v[29:30]
	v_add_f64 v[29:30], v[27:28], -v[31:32]
	v_cndmask_b32_e64 v34, 0, 0x40100000, vcc_lo
	v_add_f64 v[38:39], v[27:28], -v[29:30]
	v_add_f64 v[14:15], v[14:15], -v[29:30]
	v_add_f64 v[19:20], v[19:20], v[33:34]
	v_add_f64 v[34:35], v[21:22], -v[27:28]
	v_add_f64 v[29:30], v[31:32], -v[38:39]
	v_add_f64 v[36:37], v[23:24], v[19:20]
	;; [unrolled: 3-line block ×3, first 2 shown]
	v_cvt_i32_f64_e32 v36, v[36:37]
	v_add_f64 v[27:28], v[27:28], -v[40:41]
	v_cvt_f64_i32_e32 v[34:35], v36
	v_add_f64 v[8:9], v[8:9], v[27:28]
	v_add_f64 v[19:20], v[19:20], -v[34:35]
	v_add_f64 v[8:9], v[14:15], v[8:9]
	v_add_f64 v[14:15], v[21:22], -v[16:17]
	v_add_f64 v[25:26], v[23:24], v[19:20]
	v_add_f64 v[6:7], v[6:7], v[8:9]
	v_add_f64 v[8:9], v[25:26], -v[19:20]
	v_cmp_le_f64_e32 vcc_lo, 0.5, v[25:26]
	v_add_f64 v[6:7], v[14:15], v[6:7]
	v_add_f64 v[8:9], v[23:24], -v[8:9]
	v_cndmask_b32_e64 v34, 0, 0x3ff00000, vcc_lo
	v_add_co_ci_u32_e64 v14, null, 0, v36, vcc_lo
	v_add_f64 v[6:7], v[6:7], v[8:9]
	v_add_f64 v[8:9], v[25:26], -v[33:34]
	v_add_f64 v[15:16], v[8:9], v[6:7]
	v_mul_f64 v[19:20], v[15:16], s[10:11]
	v_add_f64 v[8:9], v[15:16], -v[8:9]
	v_fma_f64 v[21:22], v[15:16], s[10:11], -v[19:20]
	v_add_f64 v[6:7], v[6:7], -v[8:9]
	v_fma_f64 v[8:9], v[15:16], s[12:13], v[21:22]
	v_fma_f64 v[8:9], v[6:7], s[10:11], v[8:9]
	v_add_f64 v[6:7], v[19:20], v[8:9]
	v_add_f64 v[15:16], v[6:7], -v[19:20]
	v_add_f64 v[8:9], v[8:9], -v[15:16]
.LBB4_54:
	s_andn2_saveexec_b32 s1, s1
	s_cbranch_execz .LBB4_56
; %bb.55:
	s_mov_b32 s10, 0x6dc9c883
	s_mov_b32 s11, 0x3fe45f30
	;; [unrolled: 1-line block ×3, first 2 shown]
	v_mul_f64 v[6:7], |v[2:3]|, s[10:11]
	s_mov_b32 s10, 0x54442d18
	s_mov_b32 s11, 0xbff921fb
	;; [unrolled: 1-line block ×3, first 2 shown]
	v_rndne_f64_e32 v[14:15], v[6:7]
	v_fma_f64 v[6:7], v[14:15], s[10:11], |v[2:3]|
	v_mul_f64 v[8:9], v[14:15], s[12:13]
	s_mov_b32 s10, 0x252049c0
	s_mov_b32 s11, 0xb97b839a
	v_fma_f64 v[19:20], v[14:15], s[12:13], v[6:7]
	v_add_f64 v[16:17], v[6:7], v[8:9]
	s_mov_b32 s13, 0x3c91a626
	v_add_f64 v[6:7], v[6:7], -v[16:17]
	v_add_f64 v[16:17], v[16:17], -v[19:20]
	v_add_f64 v[6:7], v[6:7], v[8:9]
	v_fma_f64 v[8:9], v[14:15], s[12:13], v[8:9]
	v_add_f64 v[6:7], v[16:17], v[6:7]
	v_add_f64 v[6:7], v[6:7], -v[8:9]
	v_fma_f64 v[8:9], v[14:15], s[10:11], v[6:7]
	v_cvt_i32_f64_e32 v14, v[14:15]
	v_add_f64 v[6:7], v[19:20], v[8:9]
	v_add_f64 v[16:17], v[6:7], -v[19:20]
	v_add_f64 v[8:9], v[8:9], -v[16:17]
.LBB4_56:
	s_or_b32 exec_lo, exec_lo, s1
	v_mul_f64 v[15:16], v[6:7], v[6:7]
	s_mov_b32 s10, 0xb42fdfa7
	s_mov_b32 s12, 0xf9a43bb8
	;; [unrolled: 1-line block ×6, first 2 shown]
	v_mul_f64 v[27:28], v[8:9], 0.5
	v_cmp_class_f64_e64 s1, v[2:3], 0x1f8
	v_fma_f64 v[19:20], v[15:16], s[12:13], s[10:11]
	s_mov_b32 s10, 0x9037ab78
	s_mov_b32 s12, 0x46cc5e42
	;; [unrolled: 1-line block ×4, first 2 shown]
	v_mul_f64 v[23:24], v[15:16], 0.5
	v_fma_f64 v[21:22], v[15:16], s[12:13], s[10:11]
	s_mov_b32 s10, 0xa17f65f6
	s_mov_b32 s12, 0x19e83e5c
	;; [unrolled: 1-line block ×4, first 2 shown]
	v_mul_f64 v[29:30], v[6:7], -v[15:16]
	v_fma_f64 v[19:20], v[15:16], v[19:20], s[14:15]
	v_add_f64 v[25:26], -v[23:24], 1.0
	v_fma_f64 v[21:22], v[15:16], v[21:22], s[10:11]
	s_mov_b32 s10, 0x19f4ec90
	s_mov_b32 s11, 0x3efa01a0
	v_fma_f64 v[19:20], v[15:16], v[19:20], s[12:13]
	s_mov_b32 s12, 0x11110bb3
	s_mov_b32 s13, 0x3f811111
	v_add_f64 v[31:32], -v[25:26], 1.0
	v_fma_f64 v[21:22], v[15:16], v[21:22], s[10:11]
	s_mov_b32 s10, 0x16c16967
	s_mov_b32 s11, 0xbf56c16c
	v_fma_f64 v[19:20], v[15:16], v[19:20], s[12:13]
	v_add_f64 v[23:24], v[31:32], -v[23:24]
	v_fma_f64 v[21:22], v[15:16], v[21:22], s[10:11]
	s_mov_b32 s11, 0x3fa55555
	s_mov_b32 s10, 0x55555555
	v_fma_f64 v[19:20], v[29:30], v[19:20], v[27:28]
	v_mul_f64 v[27:28], v[15:16], v[15:16]
	v_fma_f64 v[23:24], v[6:7], -v[8:9], v[23:24]
	v_fma_f64 v[21:22], v[15:16], v[21:22], s[10:11]
	s_mov_b32 s11, 0xbfc55555
	v_fma_f64 v[8:9], v[15:16], v[19:20], -v[8:9]
	v_fma_f64 v[15:16], v[27:28], v[21:22], v[23:24]
	v_fma_f64 v[8:9], v[29:30], s[10:11], v[8:9]
	v_add_f64 v[15:16], v[25:26], v[15:16]
	v_add_f64 v[6:7], v[6:7], -v[8:9]
	v_and_b32_e32 v8, 1, v14
	v_cmp_eq_u32_e32 vcc_lo, 0, v8
	v_lshlrev_b32_e32 v8, 30, v14
	v_xor_b32_e32 v8, v8, v3
	v_and_b32_e32 v8, 0x80000000, v8
	v_cndmask_b32_e32 v7, v16, v7, vcc_lo
	v_cndmask_b32_e32 v6, v15, v6, vcc_lo
	v_xor_b32_e32 v7, v7, v8
	v_cndmask_b32_e64 v6, 0, v6, s1
	v_cndmask_b32_e64 v7, 0x7ff80000, v7, s1
	v_div_scale_f64 v[8:9], null, v[2:3], v[2:3], v[6:7]
	v_rcp_f64_e32 v[14:15], v[8:9]
	v_fma_f64 v[16:17], -v[8:9], v[14:15], 1.0
	v_fma_f64 v[14:15], v[14:15], v[16:17], v[14:15]
	v_fma_f64 v[16:17], -v[8:9], v[14:15], 1.0
	v_fma_f64 v[14:15], v[14:15], v[16:17], v[14:15]
	v_div_scale_f64 v[16:17], vcc_lo, v[6:7], v[2:3], v[6:7]
	v_mul_f64 v[19:20], v[16:17], v[14:15]
	v_fma_f64 v[8:9], -v[8:9], v[19:20], v[16:17]
	v_div_fmas_f64 v[8:9], v[8:9], v[14:15], v[19:20]
	v_div_fixup_f64 v[8:9], v[8:9], v[2:3], v[6:7]
                                        ; implicit-def: $vgpr2_vgpr3
.LBB4_57:
	s_andn2_saveexec_b32 s1, s6
	s_cbranch_execz .LBB4_59
; %bb.58:
	v_mul_f64 v[2:3], v[2:3], v[2:3]
	s_mov_b32 s6, 0x67f544e4
	s_mov_b32 s10, 0x13a86d09
	s_mov_b32 s7, 0xbe5ae645
	s_mov_b32 s11, 0x3de61246
	v_fma_f64 v[6:7], v[2:3], s[10:11], s[6:7]
	s_mov_b32 s6, 0xa556c734
	s_mov_b32 s7, 0x3ec71de3
	v_fma_f64 v[6:7], v[2:3], v[6:7], s[6:7]
	s_mov_b32 s6, 0x1a01a01a
	s_mov_b32 s7, 0xbf2a01a0
	;; [unrolled: 3-line block ×4, first 2 shown]
	v_fma_f64 v[6:7], v[2:3], v[6:7], s[6:7]
	v_fma_f64 v[8:9], v[2:3], v[6:7], 1.0
.LBB4_59:
	s_or_b32 exec_lo, exec_lo, s1
.LBB4_60:
	s_or_b32 exec_lo, exec_lo, s5
	s_or_b32 exec_lo, exec_lo, s4
	s_and_saveexec_b32 s1, s0
	s_xor_b32 s0, exec_lo, s1
	s_cbranch_execz .LBB4_46
.LBB4_61:
	v_mov_b32_e32 v2, 0
	v_lshlrev_b64 v[0:1], 3, v[1:2]
	v_add_co_u32 v2, vcc_lo, s8, v0
	v_add_co_ci_u32_e64 v3, null, s9, v1, vcc_lo
	v_mov_b32_e32 v0, v18
	global_store_dwordx2 v[2:3], v[4:5], off
	s_or_b32 exec_lo, exec_lo, s0
	s_mov_b32 s0, exec_lo
	v_cmpx_gt_i32_e64 s3, v0
	s_cbranch_execz .LBB4_47
.LBB4_62:
	v_add_nc_u32_e32 v1, s2, v0
	v_mov_b32_e32 v2, 0
	v_add_nc_u32_e32 v0, 0x100, v0
	v_lshlrev_b64 v[1:2], 3, v[1:2]
	v_add_co_u32 v1, vcc_lo, s8, v1
	v_add_co_ci_u32_e64 v2, null, s9, v2, vcc_lo
	global_store_dwordx2 v[1:2], v[12:13], off
	s_or_b32 exec_lo, exec_lo, s0
	s_mov_b32 s0, exec_lo
	v_cmpx_gt_i32_e64 s3, v0
	s_cbranch_execz .LBB4_48
.LBB4_63:
	v_add_nc_u32_e32 v1, s2, v0
	v_mov_b32_e32 v2, 0
	v_add_nc_u32_e32 v0, 0x100, v0
	v_lshlrev_b64 v[1:2], 3, v[1:2]
	v_add_co_u32 v1, vcc_lo, s8, v1
	v_add_co_ci_u32_e64 v2, null, s9, v2, vcc_lo
	global_store_dwordx2 v[1:2], v[10:11], off
	s_or_b32 exec_lo, exec_lo, s0
	s_mov_b32 s0, exec_lo
	v_cmpx_gt_i32_e64 s3, v0
	s_cbranch_execz .LBB4_49
.LBB4_64:
	v_add_nc_u32_e32 v0, s2, v0
	v_mov_b32_e32 v1, 0
	v_lshlrev_b64 v[0:1], 3, v[0:1]
	v_add_co_u32 v0, vcc_lo, s8, v0
	v_add_co_ci_u32_e64 v1, null, s9, v1, vcc_lo
	global_store_dwordx2 v[0:1], v[8:9], off
	s_endpgm
	.section	.rodata,"a",@progbits
	.p2align	6, 0x0
	.amdhsa_kernel _ZN2at6native27unrolled_elementwise_kernelIZZZNS0_12_GLOBAL__N_131spherical_bessel_j0_kernel_cudaERNS_18TensorIteratorBaseEENKUlvE_clEvENKUlvE_clEvEUldE_St5arrayIPcLm2EELi4E23TrivialOffsetCalculatorILi1EjESC_NS0_6memory15LoadWithoutCastENSD_16StoreWithoutCastEEEviT_T0_T2_T3_T4_T5_
		.amdhsa_group_segment_fixed_size 0
		.amdhsa_private_segment_fixed_size 0
		.amdhsa_kernarg_size 28
		.amdhsa_user_sgpr_count 6
		.amdhsa_user_sgpr_private_segment_buffer 1
		.amdhsa_user_sgpr_dispatch_ptr 0
		.amdhsa_user_sgpr_queue_ptr 0
		.amdhsa_user_sgpr_kernarg_segment_ptr 1
		.amdhsa_user_sgpr_dispatch_id 0
		.amdhsa_user_sgpr_flat_scratch_init 0
		.amdhsa_user_sgpr_private_segment_size 0
		.amdhsa_wavefront_size32 1
		.amdhsa_uses_dynamic_stack 0
		.amdhsa_system_sgpr_private_segment_wavefront_offset 0
		.amdhsa_system_sgpr_workgroup_id_x 1
		.amdhsa_system_sgpr_workgroup_id_y 0
		.amdhsa_system_sgpr_workgroup_id_z 0
		.amdhsa_system_sgpr_workgroup_info 0
		.amdhsa_system_vgpr_workitem_id 0
		.amdhsa_next_free_vgpr 46
		.amdhsa_next_free_sgpr 16
		.amdhsa_reserve_vcc 1
		.amdhsa_reserve_flat_scratch 0
		.amdhsa_float_round_mode_32 0
		.amdhsa_float_round_mode_16_64 0
		.amdhsa_float_denorm_mode_32 3
		.amdhsa_float_denorm_mode_16_64 3
		.amdhsa_dx10_clamp 1
		.amdhsa_ieee_mode 1
		.amdhsa_fp16_overflow 0
		.amdhsa_workgroup_processor_mode 1
		.amdhsa_memory_ordered 1
		.amdhsa_forward_progress 1
		.amdhsa_shared_vgpr_count 0
		.amdhsa_exception_fp_ieee_invalid_op 0
		.amdhsa_exception_fp_denorm_src 0
		.amdhsa_exception_fp_ieee_div_zero 0
		.amdhsa_exception_fp_ieee_overflow 0
		.amdhsa_exception_fp_ieee_underflow 0
		.amdhsa_exception_fp_ieee_inexact 0
		.amdhsa_exception_int_div_zero 0
	.end_amdhsa_kernel
	.section	.text._ZN2at6native27unrolled_elementwise_kernelIZZZNS0_12_GLOBAL__N_131spherical_bessel_j0_kernel_cudaERNS_18TensorIteratorBaseEENKUlvE_clEvENKUlvE_clEvEUldE_St5arrayIPcLm2EELi4E23TrivialOffsetCalculatorILi1EjESC_NS0_6memory15LoadWithoutCastENSD_16StoreWithoutCastEEEviT_T0_T2_T3_T4_T5_,"axG",@progbits,_ZN2at6native27unrolled_elementwise_kernelIZZZNS0_12_GLOBAL__N_131spherical_bessel_j0_kernel_cudaERNS_18TensorIteratorBaseEENKUlvE_clEvENKUlvE_clEvEUldE_St5arrayIPcLm2EELi4E23TrivialOffsetCalculatorILi1EjESC_NS0_6memory15LoadWithoutCastENSD_16StoreWithoutCastEEEviT_T0_T2_T3_T4_T5_,comdat
.Lfunc_end4:
	.size	_ZN2at6native27unrolled_elementwise_kernelIZZZNS0_12_GLOBAL__N_131spherical_bessel_j0_kernel_cudaERNS_18TensorIteratorBaseEENKUlvE_clEvENKUlvE_clEvEUldE_St5arrayIPcLm2EELi4E23TrivialOffsetCalculatorILi1EjESC_NS0_6memory15LoadWithoutCastENSD_16StoreWithoutCastEEEviT_T0_T2_T3_T4_T5_, .Lfunc_end4-_ZN2at6native27unrolled_elementwise_kernelIZZZNS0_12_GLOBAL__N_131spherical_bessel_j0_kernel_cudaERNS_18TensorIteratorBaseEENKUlvE_clEvENKUlvE_clEvEUldE_St5arrayIPcLm2EELi4E23TrivialOffsetCalculatorILi1EjESC_NS0_6memory15LoadWithoutCastENSD_16StoreWithoutCastEEEviT_T0_T2_T3_T4_T5_
                                        ; -- End function
	.set _ZN2at6native27unrolled_elementwise_kernelIZZZNS0_12_GLOBAL__N_131spherical_bessel_j0_kernel_cudaERNS_18TensorIteratorBaseEENKUlvE_clEvENKUlvE_clEvEUldE_St5arrayIPcLm2EELi4E23TrivialOffsetCalculatorILi1EjESC_NS0_6memory15LoadWithoutCastENSD_16StoreWithoutCastEEEviT_T0_T2_T3_T4_T5_.num_vgpr, 46
	.set _ZN2at6native27unrolled_elementwise_kernelIZZZNS0_12_GLOBAL__N_131spherical_bessel_j0_kernel_cudaERNS_18TensorIteratorBaseEENKUlvE_clEvENKUlvE_clEvEUldE_St5arrayIPcLm2EELi4E23TrivialOffsetCalculatorILi1EjESC_NS0_6memory15LoadWithoutCastENSD_16StoreWithoutCastEEEviT_T0_T2_T3_T4_T5_.num_agpr, 0
	.set _ZN2at6native27unrolled_elementwise_kernelIZZZNS0_12_GLOBAL__N_131spherical_bessel_j0_kernel_cudaERNS_18TensorIteratorBaseEENKUlvE_clEvENKUlvE_clEvEUldE_St5arrayIPcLm2EELi4E23TrivialOffsetCalculatorILi1EjESC_NS0_6memory15LoadWithoutCastENSD_16StoreWithoutCastEEEviT_T0_T2_T3_T4_T5_.numbered_sgpr, 16
	.set _ZN2at6native27unrolled_elementwise_kernelIZZZNS0_12_GLOBAL__N_131spherical_bessel_j0_kernel_cudaERNS_18TensorIteratorBaseEENKUlvE_clEvENKUlvE_clEvEUldE_St5arrayIPcLm2EELi4E23TrivialOffsetCalculatorILi1EjESC_NS0_6memory15LoadWithoutCastENSD_16StoreWithoutCastEEEviT_T0_T2_T3_T4_T5_.num_named_barrier, 0
	.set _ZN2at6native27unrolled_elementwise_kernelIZZZNS0_12_GLOBAL__N_131spherical_bessel_j0_kernel_cudaERNS_18TensorIteratorBaseEENKUlvE_clEvENKUlvE_clEvEUldE_St5arrayIPcLm2EELi4E23TrivialOffsetCalculatorILi1EjESC_NS0_6memory15LoadWithoutCastENSD_16StoreWithoutCastEEEviT_T0_T2_T3_T4_T5_.private_seg_size, 0
	.set _ZN2at6native27unrolled_elementwise_kernelIZZZNS0_12_GLOBAL__N_131spherical_bessel_j0_kernel_cudaERNS_18TensorIteratorBaseEENKUlvE_clEvENKUlvE_clEvEUldE_St5arrayIPcLm2EELi4E23TrivialOffsetCalculatorILi1EjESC_NS0_6memory15LoadWithoutCastENSD_16StoreWithoutCastEEEviT_T0_T2_T3_T4_T5_.uses_vcc, 1
	.set _ZN2at6native27unrolled_elementwise_kernelIZZZNS0_12_GLOBAL__N_131spherical_bessel_j0_kernel_cudaERNS_18TensorIteratorBaseEENKUlvE_clEvENKUlvE_clEvEUldE_St5arrayIPcLm2EELi4E23TrivialOffsetCalculatorILi1EjESC_NS0_6memory15LoadWithoutCastENSD_16StoreWithoutCastEEEviT_T0_T2_T3_T4_T5_.uses_flat_scratch, 0
	.set _ZN2at6native27unrolled_elementwise_kernelIZZZNS0_12_GLOBAL__N_131spherical_bessel_j0_kernel_cudaERNS_18TensorIteratorBaseEENKUlvE_clEvENKUlvE_clEvEUldE_St5arrayIPcLm2EELi4E23TrivialOffsetCalculatorILi1EjESC_NS0_6memory15LoadWithoutCastENSD_16StoreWithoutCastEEEviT_T0_T2_T3_T4_T5_.has_dyn_sized_stack, 0
	.set _ZN2at6native27unrolled_elementwise_kernelIZZZNS0_12_GLOBAL__N_131spherical_bessel_j0_kernel_cudaERNS_18TensorIteratorBaseEENKUlvE_clEvENKUlvE_clEvEUldE_St5arrayIPcLm2EELi4E23TrivialOffsetCalculatorILi1EjESC_NS0_6memory15LoadWithoutCastENSD_16StoreWithoutCastEEEviT_T0_T2_T3_T4_T5_.has_recursion, 0
	.set _ZN2at6native27unrolled_elementwise_kernelIZZZNS0_12_GLOBAL__N_131spherical_bessel_j0_kernel_cudaERNS_18TensorIteratorBaseEENKUlvE_clEvENKUlvE_clEvEUldE_St5arrayIPcLm2EELi4E23TrivialOffsetCalculatorILi1EjESC_NS0_6memory15LoadWithoutCastENSD_16StoreWithoutCastEEEviT_T0_T2_T3_T4_T5_.has_indirect_call, 0
	.section	.AMDGPU.csdata,"",@progbits
; Kernel info:
; codeLenInByte = 7164
; TotalNumSgprs: 18
; NumVgprs: 46
; ScratchSize: 0
; MemoryBound: 0
; FloatMode: 240
; IeeeMode: 1
; LDSByteSize: 0 bytes/workgroup (compile time only)
; SGPRBlocks: 0
; VGPRBlocks: 5
; NumSGPRsForWavesPerEU: 18
; NumVGPRsForWavesPerEU: 46
; Occupancy: 16
; WaveLimiterHint : 0
; COMPUTE_PGM_RSRC2:SCRATCH_EN: 0
; COMPUTE_PGM_RSRC2:USER_SGPR: 6
; COMPUTE_PGM_RSRC2:TRAP_HANDLER: 0
; COMPUTE_PGM_RSRC2:TGID_X_EN: 1
; COMPUTE_PGM_RSRC2:TGID_Y_EN: 0
; COMPUTE_PGM_RSRC2:TGID_Z_EN: 0
; COMPUTE_PGM_RSRC2:TIDIG_COMP_CNT: 0
	.section	.text._ZN2at6native32elementwise_kernel_manual_unrollILi128ELi4EZNS0_22gpu_kernel_impl_nocastIZZZNS0_12_GLOBAL__N_131spherical_bessel_j0_kernel_cudaERNS_18TensorIteratorBaseEENKUlvE_clEvENKUlvE_clEvEUldE_EEvS5_RKT_EUlibE_EEviT1_,"axG",@progbits,_ZN2at6native32elementwise_kernel_manual_unrollILi128ELi4EZNS0_22gpu_kernel_impl_nocastIZZZNS0_12_GLOBAL__N_131spherical_bessel_j0_kernel_cudaERNS_18TensorIteratorBaseEENKUlvE_clEvENKUlvE_clEvEUldE_EEvS5_RKT_EUlibE_EEviT1_,comdat
	.globl	_ZN2at6native32elementwise_kernel_manual_unrollILi128ELi4EZNS0_22gpu_kernel_impl_nocastIZZZNS0_12_GLOBAL__N_131spherical_bessel_j0_kernel_cudaERNS_18TensorIteratorBaseEENKUlvE_clEvENKUlvE_clEvEUldE_EEvS5_RKT_EUlibE_EEviT1_ ; -- Begin function _ZN2at6native32elementwise_kernel_manual_unrollILi128ELi4EZNS0_22gpu_kernel_impl_nocastIZZZNS0_12_GLOBAL__N_131spherical_bessel_j0_kernel_cudaERNS_18TensorIteratorBaseEENKUlvE_clEvENKUlvE_clEvEUldE_EEvS5_RKT_EUlibE_EEviT1_
	.p2align	8
	.type	_ZN2at6native32elementwise_kernel_manual_unrollILi128ELi4EZNS0_22gpu_kernel_impl_nocastIZZZNS0_12_GLOBAL__N_131spherical_bessel_j0_kernel_cudaERNS_18TensorIteratorBaseEENKUlvE_clEvENKUlvE_clEvEUldE_EEvS5_RKT_EUlibE_EEviT1_,@function
_ZN2at6native32elementwise_kernel_manual_unrollILi128ELi4EZNS0_22gpu_kernel_impl_nocastIZZZNS0_12_GLOBAL__N_131spherical_bessel_j0_kernel_cudaERNS_18TensorIteratorBaseEENKUlvE_clEvENKUlvE_clEvEUldE_EEvS5_RKT_EUlibE_EEviT1_: ; @_ZN2at6native32elementwise_kernel_manual_unrollILi128ELi4EZNS0_22gpu_kernel_impl_nocastIZZZNS0_12_GLOBAL__N_131spherical_bessel_j0_kernel_cudaERNS_18TensorIteratorBaseEENKUlvE_clEvENKUlvE_clEvEUldE_EEvS5_RKT_EUlibE_EEviT1_
; %bb.0:
	s_clause 0x1
	s_load_dword s22, s[4:5], 0x8
	s_load_dword s27, s[4:5], 0x0
	v_lshl_or_b32 v7, s6, 9, v0
	s_add_u32 s2, s4, 8
	s_addc_u32 s3, s5, 0
	s_mov_b32 s0, exec_lo
	v_or_b32_e32 v11, 0x180, v7
	s_waitcnt lgkmcnt(0)
	s_add_i32 s23, s22, -1
	s_cmp_gt_u32 s23, 1
	s_cselect_b32 s24, -1, 0
	v_cmpx_le_i32_e64 s27, v11
	s_xor_b32 s25, exec_lo, s0
	s_cbranch_execz .LBB5_7
; %bb.1:
	s_clause 0x3
	s_load_dwordx4 s[12:15], s[2:3], 0x4
	s_load_dwordx2 s[16:17], s[2:3], 0x14
	s_load_dwordx4 s[8:11], s[2:3], 0xc4
	s_load_dwordx4 s[4:7], s[2:3], 0x148
	s_cmp_lg_u32 s22, 0
	s_mov_b32 s30, exec_lo
	s_cselect_b32 s29, -1, 0
	s_add_u32 s18, s2, 0xc4
	s_addc_u32 s19, s3, 0
	s_min_u32 s28, s23, 15
	s_cmp_gt_u32 s22, 1
	s_cselect_b32 s26, -1, 0
	v_cmpx_gt_i32_e64 s27, v7
	s_cbranch_execz .LBB5_14
; %bb.2:
	s_andn2_b32 vcc_lo, exec_lo, s24
	s_cbranch_vccnz .LBB5_21
; %bb.3:
	s_andn2_b32 vcc_lo, exec_lo, s29
	s_cbranch_vccnz .LBB5_113
; %bb.4:
	s_add_i32 s33, s28, 1
	s_cmp_eq_u32 s23, 2
	s_cbranch_scc1 .LBB5_115
; %bb.5:
	v_mov_b32_e32 v2, 0
	v_mov_b32_e32 v0, 0
	;; [unrolled: 1-line block ×3, first 2 shown]
	s_and_b32 s31, s33, 28
	s_mov_b32 s34, 0
	s_mov_b64 s[0:1], s[2:3]
	s_mov_b64 s[20:21], s[18:19]
.LBB5_6:                                ; =>This Inner Loop Header: Depth=1
	s_clause 0x1
	s_load_dwordx8 s[36:43], s[0:1], 0x4
	s_load_dwordx4 s[52:55], s[0:1], 0x24
	s_load_dwordx8 s[44:51], s[20:21], 0x0
	s_add_u32 s0, s0, 48
	s_addc_u32 s1, s1, 0
	s_add_i32 s34, s34, 4
	s_add_u32 s20, s20, 32
	s_addc_u32 s21, s21, 0
	s_cmp_lg_u32 s31, s34
	s_waitcnt lgkmcnt(0)
	v_mul_hi_u32 v3, s37, v1
	v_add_nc_u32_e32 v3, v1, v3
	v_lshrrev_b32_e32 v3, s38, v3
	v_mul_hi_u32 v4, s40, v3
	v_mul_lo_u32 v6, v3, s36
	v_add_nc_u32_e32 v4, v3, v4
	v_sub_nc_u32_e32 v1, v1, v6
	v_lshrrev_b32_e32 v4, s41, v4
	v_mul_lo_u32 v6, v1, s44
	v_mul_lo_u32 v9, v1, s45
	v_mul_hi_u32 v5, s43, v4
	v_add_nc_u32_e32 v5, v4, v5
	v_lshrrev_b32_e32 v5, s52, v5
	v_mul_hi_u32 v8, s54, v5
	v_mul_lo_u32 v10, v5, s42
	v_add_nc_u32_e32 v1, v5, v8
	v_mul_lo_u32 v8, v4, s39
	v_sub_nc_u32_e32 v4, v4, v10
	v_lshrrev_b32_e32 v1, s55, v1
	v_mul_lo_u32 v10, v4, s48
	v_mul_lo_u32 v4, v4, s49
	v_sub_nc_u32_e32 v3, v3, v8
	v_mul_lo_u32 v11, v1, s53
	v_mul_lo_u32 v8, v3, s46
	;; [unrolled: 1-line block ×3, first 2 shown]
	v_sub_nc_u32_e32 v5, v5, v11
	v_add3_u32 v0, v6, v0, v8
	v_mul_lo_u32 v11, v5, s50
	v_mul_lo_u32 v5, v5, s51
	v_add3_u32 v2, v9, v2, v3
	v_add3_u32 v0, v10, v0, v11
	;; [unrolled: 1-line block ×3, first 2 shown]
	s_cbranch_scc1 .LBB5_6
	s_branch .LBB5_116
.LBB5_7:
	s_andn2_saveexec_b32 s0, s25
	s_cbranch_execz .LBB5_161
.LBB5_8:
	v_cndmask_b32_e64 v4, 0, 1, s24
	s_andn2_b32 vcc_lo, exec_lo, s24
	s_cbranch_vccnz .LBB5_20
; %bb.9:
	s_cmp_lg_u32 s22, 0
	s_waitcnt lgkmcnt(0)
	s_mov_b32 s6, 0
	s_cbranch_scc0 .LBB5_23
; %bb.10:
	s_min_u32 s8, s23, 15
	s_add_i32 s8, s8, 1
	s_cmp_eq_u32 s23, 2
	s_cbranch_scc1 .LBB5_24
; %bb.11:
	v_mov_b32_e32 v9, 0
	v_mov_b32_e32 v0, 0
	;; [unrolled: 1-line block ×3, first 2 shown]
	s_and_b32 s7, s8, 28
	s_add_u32 s0, s2, 0xc4
	s_addc_u32 s1, s3, 0
	s_mov_b32 s9, 0
	s_mov_b64 s[4:5], s[2:3]
.LBB5_12:                               ; =>This Inner Loop Header: Depth=1
	s_clause 0x1
	s_load_dwordx8 s[12:19], s[4:5], 0x4
	s_load_dwordx4 s[36:39], s[4:5], 0x24
	s_load_dwordx8 s[24:31], s[0:1], 0x0
	s_add_u32 s4, s4, 48
	s_addc_u32 s5, s5, 0
	s_add_i32 s9, s9, 4
	s_add_u32 s0, s0, 32
	s_addc_u32 s1, s1, 0
	s_cmp_lg_u32 s7, s9
	s_waitcnt lgkmcnt(0)
	v_mul_hi_u32 v2, s13, v1
	v_add_nc_u32_e32 v2, v1, v2
	v_lshrrev_b32_e32 v2, s14, v2
	v_mul_hi_u32 v3, s16, v2
	v_mul_lo_u32 v6, v2, s12
	v_add_nc_u32_e32 v3, v2, v3
	v_sub_nc_u32_e32 v1, v1, v6
	v_lshrrev_b32_e32 v3, s17, v3
	v_mul_lo_u32 v6, v1, s24
	v_mul_lo_u32 v10, v1, s25
	v_mul_hi_u32 v5, s19, v3
	v_add_nc_u32_e32 v5, v3, v5
	v_lshrrev_b32_e32 v5, s36, v5
	v_mul_hi_u32 v8, s38, v5
	v_mul_lo_u32 v12, v5, s18
	v_add_nc_u32_e32 v1, v5, v8
	v_mul_lo_u32 v8, v3, s15
	v_sub_nc_u32_e32 v3, v3, v12
	v_lshrrev_b32_e32 v1, s39, v1
	v_mul_lo_u32 v12, v3, s28
	v_mul_lo_u32 v3, v3, s29
	v_sub_nc_u32_e32 v2, v2, v8
	v_mul_lo_u32 v13, v1, s37
	v_mul_lo_u32 v8, v2, s26
	;; [unrolled: 1-line block ×3, first 2 shown]
	v_sub_nc_u32_e32 v5, v5, v13
	v_add3_u32 v0, v6, v0, v8
	v_mul_lo_u32 v13, v5, s30
	v_mul_lo_u32 v5, v5, s31
	v_add3_u32 v2, v10, v9, v2
	v_add3_u32 v0, v12, v0, v13
	;; [unrolled: 1-line block ×3, first 2 shown]
	s_cbranch_scc1 .LBB5_12
; %bb.13:
	s_and_b32 s8, s8, 3
	s_cmp_eq_u32 s8, 0
	s_cbranch_scc0 .LBB5_25
	s_branch .LBB5_27
.LBB5_14:
	s_or_b32 exec_lo, exec_lo, s30
	s_mov_b32 s30, exec_lo
	v_cmpx_gt_i32_e64 s27, v7
	s_cbranch_execz .LBB5_133
.LBB5_15:
	s_andn2_b32 vcc_lo, exec_lo, s24
	s_cbranch_vccnz .LBB5_22
; %bb.16:
	s_andn2_b32 vcc_lo, exec_lo, s29
	s_cbranch_vccnz .LBB5_114
; %bb.17:
	s_add_i32 s33, s28, 1
	s_cmp_eq_u32 s23, 2
	s_cbranch_scc1 .LBB5_141
; %bb.18:
	v_mov_b32_e32 v2, 0
	v_mov_b32_e32 v0, 0
	;; [unrolled: 1-line block ×3, first 2 shown]
	s_and_b32 s31, s33, 28
	s_mov_b32 s34, 0
	s_mov_b64 s[0:1], s[2:3]
	s_mov_b64 s[20:21], s[18:19]
.LBB5_19:                               ; =>This Inner Loop Header: Depth=1
	s_clause 0x1
	s_load_dwordx8 s[36:43], s[0:1], 0x4
	s_load_dwordx4 s[52:55], s[0:1], 0x24
	s_load_dwordx8 s[44:51], s[20:21], 0x0
	s_add_u32 s0, s0, 48
	s_addc_u32 s1, s1, 0
	s_add_i32 s34, s34, 4
	s_add_u32 s20, s20, 32
	s_addc_u32 s21, s21, 0
	s_cmp_eq_u32 s31, s34
	s_waitcnt lgkmcnt(0)
	v_mul_hi_u32 v3, s37, v1
	v_add_nc_u32_e32 v3, v1, v3
	v_lshrrev_b32_e32 v3, s38, v3
	v_mul_hi_u32 v4, s40, v3
	v_mul_lo_u32 v6, v3, s36
	v_add_nc_u32_e32 v4, v3, v4
	v_sub_nc_u32_e32 v1, v1, v6
	v_lshrrev_b32_e32 v4, s41, v4
	v_mul_lo_u32 v6, v1, s44
	v_mul_lo_u32 v9, v1, s45
	v_mul_hi_u32 v5, s43, v4
	v_add_nc_u32_e32 v5, v4, v5
	v_lshrrev_b32_e32 v5, s52, v5
	v_mul_hi_u32 v8, s54, v5
	v_mul_lo_u32 v10, v5, s42
	v_add_nc_u32_e32 v1, v5, v8
	v_mul_lo_u32 v8, v4, s39
	v_sub_nc_u32_e32 v4, v4, v10
	v_lshrrev_b32_e32 v1, s55, v1
	v_mul_lo_u32 v10, v4, s48
	v_mul_lo_u32 v4, v4, s49
	v_sub_nc_u32_e32 v3, v3, v8
	v_mul_lo_u32 v11, v1, s53
	v_mul_lo_u32 v8, v3, s46
	;; [unrolled: 1-line block ×3, first 2 shown]
	v_sub_nc_u32_e32 v5, v5, v11
	v_add3_u32 v0, v6, v0, v8
	v_mul_lo_u32 v11, v5, s50
	v_mul_lo_u32 v5, v5, s51
	v_add3_u32 v2, v9, v2, v3
	v_add3_u32 v0, v10, v0, v11
	;; [unrolled: 1-line block ×3, first 2 shown]
	s_cbranch_scc0 .LBB5_19
	s_branch .LBB5_142
.LBB5_20:
	s_waitcnt lgkmcnt(0)
	s_mov_b32 s6, -1
                                        ; implicit-def: $vgpr0
                                        ; implicit-def: $vgpr9
	s_branch .LBB5_27
.LBB5_21:
                                        ; implicit-def: $vgpr0
                                        ; implicit-def: $vgpr2
	s_branch .LBB5_120
.LBB5_22:
                                        ; implicit-def: $vgpr0
                                        ; implicit-def: $vgpr2
	s_branch .LBB5_146
.LBB5_23:
	v_mov_b32_e32 v0, 0
	v_mov_b32_e32 v9, 0
	s_branch .LBB5_27
.LBB5_24:
	v_mov_b32_e32 v0, 0
	v_mov_b32_e32 v9, 0
	;; [unrolled: 1-line block ×3, first 2 shown]
	s_mov_b32 s7, 0
	s_and_b32 s8, s8, 3
	s_cmp_eq_u32 s8, 0
	s_cbranch_scc1 .LBB5_27
.LBB5_25:
	s_lshl_b32 s0, s7, 3
	s_mul_i32 s4, s7, 12
	s_add_u32 s0, s2, s0
	s_addc_u32 s1, s3, 0
	s_add_u32 s0, s0, 0xc4
	s_addc_u32 s1, s1, 0
	;; [unrolled: 2-line block ×3, first 2 shown]
	.p2align	6
.LBB5_26:                               ; =>This Inner Loop Header: Depth=1
	s_clause 0x1
	s_load_dwordx2 s[10:11], s[4:5], 0x4
	s_load_dword s7, s[4:5], 0xc
	s_load_dwordx2 s[12:13], s[0:1], 0x0
	s_add_u32 s4, s4, 12
	s_addc_u32 s5, s5, 0
	s_add_u32 s0, s0, 8
	s_addc_u32 s1, s1, 0
	s_add_i32 s8, s8, -1
	s_cmp_lg_u32 s8, 0
	s_waitcnt lgkmcnt(0)
	v_mul_hi_u32 v2, s11, v1
	v_add_nc_u32_e32 v2, v1, v2
	v_lshrrev_b32_e32 v2, s7, v2
	v_mul_lo_u32 v3, v2, s10
	v_sub_nc_u32_e32 v3, v1, v3
	v_mad_u64_u32 v[0:1], null, v3, s12, v[0:1]
	v_mad_u64_u32 v[9:10], null, v3, s13, v[9:10]
	v_mov_b32_e32 v1, v2
	s_cbranch_scc1 .LBB5_26
.LBB5_27:
	s_andn2_b32 vcc_lo, exec_lo, s6
	s_cbranch_vccnz .LBB5_30
; %bb.28:
	s_clause 0x1
	s_load_dwordx4 s[4:7], s[2:3], 0x4
	s_load_dwordx2 s[0:1], s[2:3], 0xc4
	s_cmp_lt_u32 s22, 2
	s_waitcnt lgkmcnt(0)
	v_mul_hi_u32 v0, s5, v7
	v_add_nc_u32_e32 v0, v7, v0
	v_lshrrev_b32_e32 v1, s6, v0
	v_mul_lo_u32 v0, v1, s4
	v_sub_nc_u32_e32 v2, v7, v0
	v_mul_lo_u32 v0, v2, s0
	v_mul_lo_u32 v9, v2, s1
	s_cbranch_scc1 .LBB5_30
; %bb.29:
	s_clause 0x1
	s_load_dwordx4 s[4:7], s[2:3], 0x10
	s_load_dwordx2 s[0:1], s[2:3], 0xcc
	s_waitcnt lgkmcnt(0)
	v_mul_hi_u32 v2, s5, v1
	v_add_nc_u32_e32 v2, v1, v2
	v_lshrrev_b32_e32 v2, s6, v2
	v_mul_lo_u32 v2, v2, s4
	v_sub_nc_u32_e32 v2, v1, v2
	v_mad_u64_u32 v[0:1], null, v2, s0, v[0:1]
	v_mad_u64_u32 v[9:10], null, v2, s1, v[9:10]
.LBB5_30:
	v_cmp_ne_u32_e32 vcc_lo, 1, v4
	v_add_nc_u32_e32 v3, 0x80, v7
	s_cbranch_vccnz .LBB5_36
; %bb.31:
	s_cmp_lg_u32 s22, 0
	s_mov_b32 s6, 0
	s_cbranch_scc0 .LBB5_37
; %bb.32:
	s_min_u32 s8, s23, 15
	s_add_i32 s8, s8, 1
	s_cmp_eq_u32 s23, 2
	s_cbranch_scc1 .LBB5_38
; %bb.33:
	v_mov_b32_e32 v12, 0
	v_mov_b32_e32 v1, 0
	;; [unrolled: 1-line block ×3, first 2 shown]
	s_and_b32 s7, s8, 28
	s_add_u32 s0, s2, 0xc4
	s_addc_u32 s1, s3, 0
	s_mov_b32 s9, 0
	s_mov_b64 s[4:5], s[2:3]
.LBB5_34:                               ; =>This Inner Loop Header: Depth=1
	s_clause 0x1
	s_load_dwordx8 s[12:19], s[4:5], 0x4
	s_load_dwordx4 s[36:39], s[4:5], 0x24
	s_load_dwordx8 s[24:31], s[0:1], 0x0
	s_add_u32 s4, s4, 48
	s_addc_u32 s5, s5, 0
	s_add_i32 s9, s9, 4
	s_add_u32 s0, s0, 32
	s_addc_u32 s1, s1, 0
	s_cmp_lg_u32 s7, s9
	s_waitcnt lgkmcnt(0)
	v_mul_hi_u32 v5, s13, v2
	v_add_nc_u32_e32 v5, v2, v5
	v_lshrrev_b32_e32 v5, s14, v5
	v_mul_hi_u32 v6, s16, v5
	v_mul_lo_u32 v10, v5, s12
	v_add_nc_u32_e32 v6, v5, v6
	v_sub_nc_u32_e32 v2, v2, v10
	v_lshrrev_b32_e32 v6, s17, v6
	v_mul_lo_u32 v10, v2, s24
	v_mul_lo_u32 v14, v2, s25
	v_mul_hi_u32 v8, s19, v6
	v_add_nc_u32_e32 v8, v6, v8
	v_lshrrev_b32_e32 v8, s36, v8
	v_mul_hi_u32 v13, s38, v8
	v_mul_lo_u32 v15, v8, s18
	v_add_nc_u32_e32 v2, v8, v13
	v_mul_lo_u32 v13, v6, s15
	v_sub_nc_u32_e32 v6, v6, v15
	v_lshrrev_b32_e32 v2, s39, v2
	v_mul_lo_u32 v15, v6, s28
	v_mul_lo_u32 v6, v6, s29
	v_sub_nc_u32_e32 v5, v5, v13
	v_mul_lo_u32 v16, v2, s37
	v_mul_lo_u32 v13, v5, s26
	;; [unrolled: 1-line block ×3, first 2 shown]
	v_sub_nc_u32_e32 v8, v8, v16
	v_add3_u32 v1, v10, v1, v13
	v_mul_lo_u32 v16, v8, s30
	v_mul_lo_u32 v8, v8, s31
	v_add3_u32 v5, v14, v12, v5
	v_add3_u32 v1, v15, v1, v16
	;; [unrolled: 1-line block ×3, first 2 shown]
	s_cbranch_scc1 .LBB5_34
; %bb.35:
	s_and_b32 s8, s8, 3
	s_cmp_eq_u32 s8, 0
	s_cbranch_scc0 .LBB5_39
	s_branch .LBB5_41
.LBB5_36:
	s_mov_b32 s6, -1
                                        ; implicit-def: $vgpr1
                                        ; implicit-def: $vgpr12
	s_branch .LBB5_41
.LBB5_37:
	v_mov_b32_e32 v1, 0
	v_mov_b32_e32 v12, 0
	s_branch .LBB5_41
.LBB5_38:
	v_mov_b32_e32 v1, 0
	v_mov_b32_e32 v12, 0
	;; [unrolled: 1-line block ×3, first 2 shown]
	s_mov_b32 s7, 0
	s_and_b32 s8, s8, 3
	s_cmp_eq_u32 s8, 0
	s_cbranch_scc1 .LBB5_41
.LBB5_39:
	s_lshl_b32 s0, s7, 3
	s_mul_i32 s4, s7, 12
	s_add_u32 s0, s2, s0
	s_addc_u32 s1, s3, 0
	s_add_u32 s0, s0, 0xc4
	s_addc_u32 s1, s1, 0
	;; [unrolled: 2-line block ×3, first 2 shown]
	.p2align	6
.LBB5_40:                               ; =>This Inner Loop Header: Depth=1
	s_clause 0x1
	s_load_dwordx2 s[10:11], s[4:5], 0x4
	s_load_dword s7, s[4:5], 0xc
	s_load_dwordx2 s[12:13], s[0:1], 0x0
	s_add_u32 s4, s4, 12
	s_addc_u32 s5, s5, 0
	s_add_u32 s0, s0, 8
	s_addc_u32 s1, s1, 0
	s_add_i32 s8, s8, -1
	s_cmp_lg_u32 s8, 0
	s_waitcnt lgkmcnt(0)
	v_mul_hi_u32 v5, s11, v2
	v_add_nc_u32_e32 v5, v2, v5
	v_lshrrev_b32_e32 v5, s7, v5
	v_mul_lo_u32 v6, v5, s10
	v_sub_nc_u32_e32 v6, v2, v6
	v_mad_u64_u32 v[1:2], null, v6, s12, v[1:2]
	v_mad_u64_u32 v[12:13], null, v6, s13, v[12:13]
	v_mov_b32_e32 v2, v5
	s_cbranch_scc1 .LBB5_40
.LBB5_41:
	s_andn2_b32 vcc_lo, exec_lo, s6
	s_cbranch_vccnz .LBB5_44
; %bb.42:
	s_clause 0x1
	s_load_dwordx4 s[4:7], s[2:3], 0x4
	s_load_dwordx2 s[0:1], s[2:3], 0xc4
	s_cmp_lt_u32 s22, 2
	s_waitcnt lgkmcnt(0)
	v_mul_hi_u32 v1, s5, v3
	v_add_nc_u32_e32 v1, v3, v1
	v_lshrrev_b32_e32 v2, s6, v1
	v_mul_lo_u32 v1, v2, s4
	v_sub_nc_u32_e32 v3, v3, v1
	v_mul_lo_u32 v1, v3, s0
	v_mul_lo_u32 v12, v3, s1
	s_cbranch_scc1 .LBB5_44
; %bb.43:
	s_clause 0x1
	s_load_dwordx4 s[4:7], s[2:3], 0x10
	s_load_dwordx2 s[0:1], s[2:3], 0xcc
	s_waitcnt lgkmcnt(0)
	v_mul_hi_u32 v3, s5, v2
	v_add_nc_u32_e32 v3, v2, v3
	v_lshrrev_b32_e32 v3, s6, v3
	v_mul_lo_u32 v3, v3, s4
	v_sub_nc_u32_e32 v3, v2, v3
	v_mad_u64_u32 v[1:2], null, v3, s0, v[1:2]
	v_mad_u64_u32 v[12:13], null, v3, s1, v[12:13]
.LBB5_44:
	v_cmp_ne_u32_e32 vcc_lo, 1, v4
	v_add_nc_u32_e32 v5, 0x100, v7
	s_cbranch_vccnz .LBB5_50
; %bb.45:
	s_cmp_lg_u32 s22, 0
	s_mov_b32 s6, 0
	s_cbranch_scc0 .LBB5_51
; %bb.46:
	s_min_u32 s8, s23, 15
	s_add_i32 s8, s8, 1
	s_cmp_eq_u32 s23, 2
	s_cbranch_scc1 .LBB5_52
; %bb.47:
	v_mov_b32_e32 v7, 0
	v_mov_b32_e32 v2, 0
	v_mov_b32_e32 v3, v5
	s_and_b32 s7, s8, 28
	s_add_u32 s0, s2, 0xc4
	s_addc_u32 s1, s3, 0
	s_mov_b32 s9, 0
	s_mov_b64 s[4:5], s[2:3]
.LBB5_48:                               ; =>This Inner Loop Header: Depth=1
	s_clause 0x1
	s_load_dwordx8 s[12:19], s[4:5], 0x4
	s_load_dwordx4 s[36:39], s[4:5], 0x24
	s_load_dwordx8 s[24:31], s[0:1], 0x0
	s_add_u32 s4, s4, 48
	s_addc_u32 s5, s5, 0
	s_add_i32 s9, s9, 4
	s_add_u32 s0, s0, 32
	s_addc_u32 s1, s1, 0
	s_cmp_lg_u32 s7, s9
	s_waitcnt lgkmcnt(0)
	v_mul_hi_u32 v6, s13, v3
	v_add_nc_u32_e32 v6, v3, v6
	v_lshrrev_b32_e32 v6, s14, v6
	v_mul_hi_u32 v8, s16, v6
	v_mul_lo_u32 v13, v6, s12
	v_add_nc_u32_e32 v8, v6, v8
	v_sub_nc_u32_e32 v3, v3, v13
	v_lshrrev_b32_e32 v8, s17, v8
	v_mul_lo_u32 v13, v3, s24
	v_mul_lo_u32 v15, v3, s25
	v_mul_hi_u32 v10, s19, v8
	v_add_nc_u32_e32 v10, v8, v10
	v_lshrrev_b32_e32 v10, s36, v10
	v_mul_hi_u32 v14, s38, v10
	v_mul_lo_u32 v16, v10, s18
	v_add_nc_u32_e32 v3, v10, v14
	v_mul_lo_u32 v14, v8, s15
	v_sub_nc_u32_e32 v8, v8, v16
	v_lshrrev_b32_e32 v3, s39, v3
	v_mul_lo_u32 v16, v8, s28
	v_mul_lo_u32 v8, v8, s29
	v_sub_nc_u32_e32 v6, v6, v14
	v_mul_lo_u32 v17, v3, s37
	v_mul_lo_u32 v14, v6, s26
	;; [unrolled: 1-line block ×3, first 2 shown]
	v_sub_nc_u32_e32 v10, v10, v17
	v_add3_u32 v2, v13, v2, v14
	v_mul_lo_u32 v17, v10, s30
	v_mul_lo_u32 v10, v10, s31
	v_add3_u32 v6, v15, v7, v6
	v_add3_u32 v2, v16, v2, v17
	;; [unrolled: 1-line block ×3, first 2 shown]
	s_cbranch_scc1 .LBB5_48
; %bb.49:
	s_and_b32 s8, s8, 3
	s_cmp_eq_u32 s8, 0
	s_cbranch_scc0 .LBB5_53
	s_branch .LBB5_55
.LBB5_50:
	s_mov_b32 s6, -1
                                        ; implicit-def: $vgpr2
                                        ; implicit-def: $vgpr7
	s_branch .LBB5_55
.LBB5_51:
	v_mov_b32_e32 v2, 0
	v_mov_b32_e32 v7, 0
	s_branch .LBB5_55
.LBB5_52:
	v_mov_b32_e32 v2, 0
	v_mov_b32_e32 v7, 0
	;; [unrolled: 1-line block ×3, first 2 shown]
	s_mov_b32 s7, 0
	s_and_b32 s8, s8, 3
	s_cmp_eq_u32 s8, 0
	s_cbranch_scc1 .LBB5_55
.LBB5_53:
	s_lshl_b32 s0, s7, 3
	s_mul_i32 s4, s7, 12
	s_add_u32 s0, s2, s0
	s_addc_u32 s1, s3, 0
	s_add_u32 s0, s0, 0xc4
	s_addc_u32 s1, s1, 0
	;; [unrolled: 2-line block ×3, first 2 shown]
	.p2align	6
.LBB5_54:                               ; =>This Inner Loop Header: Depth=1
	s_clause 0x1
	s_load_dwordx2 s[10:11], s[4:5], 0x4
	s_load_dword s7, s[4:5], 0xc
	s_load_dwordx2 s[12:13], s[0:1], 0x0
	s_add_u32 s4, s4, 12
	s_addc_u32 s5, s5, 0
	s_add_u32 s0, s0, 8
	s_addc_u32 s1, s1, 0
	s_add_i32 s8, s8, -1
	s_cmp_lg_u32 s8, 0
	s_waitcnt lgkmcnt(0)
	v_mul_hi_u32 v6, s11, v3
	v_add_nc_u32_e32 v6, v3, v6
	v_lshrrev_b32_e32 v6, s7, v6
	v_mul_lo_u32 v8, v6, s10
	v_sub_nc_u32_e32 v8, v3, v8
	v_mad_u64_u32 v[2:3], null, v8, s12, v[2:3]
	v_mad_u64_u32 v[7:8], null, v8, s13, v[7:8]
	v_mov_b32_e32 v3, v6
	s_cbranch_scc1 .LBB5_54
.LBB5_55:
	s_andn2_b32 vcc_lo, exec_lo, s6
	s_cbranch_vccnz .LBB5_58
; %bb.56:
	s_clause 0x1
	s_load_dwordx4 s[4:7], s[2:3], 0x4
	s_load_dwordx2 s[0:1], s[2:3], 0xc4
	s_cmp_lt_u32 s22, 2
	s_waitcnt lgkmcnt(0)
	v_mul_hi_u32 v2, s5, v5
	v_add_nc_u32_e32 v2, v5, v2
	v_lshrrev_b32_e32 v3, s6, v2
	v_mul_lo_u32 v2, v3, s4
	v_sub_nc_u32_e32 v5, v5, v2
	v_mul_lo_u32 v2, v5, s0
	v_mul_lo_u32 v7, v5, s1
	s_cbranch_scc1 .LBB5_58
; %bb.57:
	s_clause 0x1
	s_load_dwordx4 s[4:7], s[2:3], 0x10
	s_load_dwordx2 s[0:1], s[2:3], 0xcc
	s_waitcnt lgkmcnt(0)
	v_mul_hi_u32 v5, s5, v3
	v_add_nc_u32_e32 v5, v3, v5
	v_lshrrev_b32_e32 v5, s6, v5
	v_mul_lo_u32 v5, v5, s4
	v_sub_nc_u32_e32 v5, v3, v5
	v_mad_u64_u32 v[2:3], null, v5, s0, v[2:3]
	v_mad_u64_u32 v[7:8], null, v5, s1, v[7:8]
.LBB5_58:
	v_cmp_ne_u32_e32 vcc_lo, 1, v4
	s_cbranch_vccnz .LBB5_64
; %bb.59:
	s_cmp_lg_u32 s22, 0
	s_mov_b32 s6, 0
	s_cbranch_scc0 .LBB5_65
; %bb.60:
	s_min_u32 s8, s23, 15
	s_add_i32 s8, s8, 1
	s_cmp_eq_u32 s23, 2
	s_cbranch_scc1 .LBB5_66
; %bb.61:
	v_mov_b32_e32 v5, 0
	v_mov_b32_e32 v3, 0
	;; [unrolled: 1-line block ×3, first 2 shown]
	s_and_b32 s7, s8, 28
	s_add_u32 s0, s2, 0xc4
	s_addc_u32 s1, s3, 0
	s_mov_b32 s9, 0
	s_mov_b64 s[4:5], s[2:3]
.LBB5_62:                               ; =>This Inner Loop Header: Depth=1
	s_clause 0x1
	s_load_dwordx8 s[12:19], s[4:5], 0x4
	s_load_dwordx4 s[36:39], s[4:5], 0x24
	s_load_dwordx8 s[24:31], s[0:1], 0x0
	s_add_u32 s4, s4, 48
	s_addc_u32 s5, s5, 0
	s_add_i32 s9, s9, 4
	s_add_u32 s0, s0, 32
	s_addc_u32 s1, s1, 0
	s_cmp_lg_u32 s7, s9
	s_waitcnt lgkmcnt(0)
	v_mul_hi_u32 v6, s13, v4
	v_add_nc_u32_e32 v6, v4, v6
	v_lshrrev_b32_e32 v6, s14, v6
	v_mul_hi_u32 v8, s16, v6
	v_mul_lo_u32 v13, v6, s12
	v_add_nc_u32_e32 v8, v6, v8
	v_sub_nc_u32_e32 v4, v4, v13
	v_lshrrev_b32_e32 v8, s17, v8
	v_mul_lo_u32 v13, v4, s24
	v_mul_lo_u32 v15, v4, s25
	v_mul_hi_u32 v10, s19, v8
	v_add_nc_u32_e32 v10, v8, v10
	v_lshrrev_b32_e32 v10, s36, v10
	v_mul_hi_u32 v14, s38, v10
	v_mul_lo_u32 v16, v10, s18
	v_add_nc_u32_e32 v4, v10, v14
	v_mul_lo_u32 v14, v8, s15
	v_sub_nc_u32_e32 v8, v8, v16
	v_lshrrev_b32_e32 v4, s39, v4
	v_mul_lo_u32 v16, v8, s28
	v_mul_lo_u32 v8, v8, s29
	v_sub_nc_u32_e32 v6, v6, v14
	v_mul_lo_u32 v17, v4, s37
	v_mul_lo_u32 v14, v6, s26
	;; [unrolled: 1-line block ×3, first 2 shown]
	v_sub_nc_u32_e32 v10, v10, v17
	v_add3_u32 v3, v13, v3, v14
	v_mul_lo_u32 v17, v10, s30
	v_mul_lo_u32 v10, v10, s31
	v_add3_u32 v5, v15, v5, v6
	v_add3_u32 v3, v16, v3, v17
	;; [unrolled: 1-line block ×3, first 2 shown]
	s_cbranch_scc1 .LBB5_62
; %bb.63:
	s_and_b32 s8, s8, 3
	s_cmp_eq_u32 s8, 0
	s_cbranch_scc0 .LBB5_67
	s_branch .LBB5_69
.LBB5_64:
	s_mov_b32 s6, -1
                                        ; implicit-def: $vgpr3
                                        ; implicit-def: $vgpr5
	s_branch .LBB5_69
.LBB5_65:
	v_mov_b32_e32 v3, 0
	v_mov_b32_e32 v5, 0
	s_branch .LBB5_69
.LBB5_66:
	v_mov_b32_e32 v3, 0
	v_mov_b32_e32 v5, 0
	;; [unrolled: 1-line block ×3, first 2 shown]
	s_mov_b32 s7, 0
	s_and_b32 s8, s8, 3
	s_cmp_eq_u32 s8, 0
	s_cbranch_scc1 .LBB5_69
.LBB5_67:
	s_lshl_b32 s0, s7, 3
	s_mul_i32 s4, s7, 12
	s_add_u32 s0, s2, s0
	s_addc_u32 s1, s3, 0
	s_add_u32 s0, s0, 0xc4
	s_addc_u32 s1, s1, 0
	;; [unrolled: 2-line block ×3, first 2 shown]
	.p2align	6
.LBB5_68:                               ; =>This Inner Loop Header: Depth=1
	s_clause 0x1
	s_load_dwordx2 s[10:11], s[4:5], 0x4
	s_load_dword s7, s[4:5], 0xc
	s_load_dwordx2 s[12:13], s[0:1], 0x0
	s_add_u32 s4, s4, 12
	s_addc_u32 s5, s5, 0
	s_add_u32 s0, s0, 8
	s_addc_u32 s1, s1, 0
	s_add_i32 s8, s8, -1
	s_cmp_lg_u32 s8, 0
	s_waitcnt lgkmcnt(0)
	v_mul_hi_u32 v6, s11, v4
	v_add_nc_u32_e32 v6, v4, v6
	v_lshrrev_b32_e32 v8, s7, v6
	v_mul_lo_u32 v6, v8, s10
	v_sub_nc_u32_e32 v6, v4, v6
	v_mad_u64_u32 v[3:4], null, v6, s12, v[3:4]
	v_mad_u64_u32 v[5:6], null, v6, s13, v[5:6]
	v_mov_b32_e32 v4, v8
	s_cbranch_scc1 .LBB5_68
.LBB5_69:
	s_andn2_b32 vcc_lo, exec_lo, s6
	s_cbranch_vccnz .LBB5_72
; %bb.70:
	s_clause 0x1
	s_load_dwordx4 s[4:7], s[2:3], 0x4
	s_load_dwordx2 s[0:1], s[2:3], 0xc4
	s_cmp_lt_u32 s22, 2
	s_waitcnt lgkmcnt(0)
	v_mul_hi_u32 v3, s5, v11
	v_add_nc_u32_e32 v3, v11, v3
	v_lshrrev_b32_e32 v4, s6, v3
	v_mul_lo_u32 v3, v4, s4
	v_sub_nc_u32_e32 v5, v11, v3
	v_mul_lo_u32 v3, v5, s0
	v_mul_lo_u32 v5, v5, s1
	s_cbranch_scc1 .LBB5_72
; %bb.71:
	s_clause 0x1
	s_load_dwordx4 s[4:7], s[2:3], 0x10
	s_load_dwordx2 s[0:1], s[2:3], 0xcc
	s_waitcnt lgkmcnt(0)
	v_mul_hi_u32 v6, s5, v4
	v_add_nc_u32_e32 v6, v4, v6
	v_lshrrev_b32_e32 v6, s6, v6
	v_mul_lo_u32 v6, v6, s4
	v_sub_nc_u32_e32 v6, v4, v6
	v_mad_u64_u32 v[3:4], null, v6, s0, v[3:4]
	v_mad_u64_u32 v[5:6], null, v6, s1, v[5:6]
.LBB5_72:
	s_load_dwordx4 s[4:7], s[2:3], 0x148
	v_mov_b32_e32 v10, 0
	v_mov_b32_e32 v11, 0
	s_mov_b32 s1, exec_lo
	s_waitcnt lgkmcnt(0)
	global_load_dwordx2 v[13:14], v9, s[6:7]
	v_mov_b32_e32 v8, 0
	v_mov_b32_e32 v9, 0
	s_waitcnt vmcnt(0)
	v_cmpx_neq_f64_e64 0x7ff00000, |v[13:14]|
	s_cbranch_execz .LBB5_82
; %bb.73:
	s_mov_b32 s2, exec_lo
                                        ; implicit-def: $vgpr10_vgpr11
	v_cmpx_nlt_f64_e64 |v[13:14]|, 0.5
	s_xor_b32 s2, exec_lo, s2
	s_cbranch_execz .LBB5_79
; %bb.74:
	v_cmp_ngt_f64_e64 s0, 0x41d00000, |v[13:14]|
                                        ; implicit-def: $vgpr4
                                        ; implicit-def: $vgpr10_vgpr11
                                        ; implicit-def: $vgpr15_vgpr16
	s_and_saveexec_b32 s3, s0
	s_xor_b32 s0, exec_lo, s3
	s_cbranch_execz .LBB5_76
; %bb.75:
	v_ldexp_f64 v[10:11], |v[13:14]|, 0xffffff80
	v_cmp_le_f64_e64 vcc_lo, 0x7b000000, |v[13:14]|
	v_trig_preop_f64 v[15:16], |v[13:14]|, 0
	v_and_b32_e32 v4, 0x7fffffff, v14
	v_trig_preop_f64 v[17:18], |v[13:14]|, 1
	v_trig_preop_f64 v[27:28], |v[13:14]|, 2
	v_mov_b32_e32 v35, 0
	s_mov_b32 s8, 0x54442d18
	s_mov_b32 s9, 0x3ff921fb
	;; [unrolled: 1-line block ×4, first 2 shown]
	v_cndmask_b32_e32 v11, v4, v11, vcc_lo
	v_cndmask_b32_e32 v10, v13, v10, vcc_lo
	v_mul_f64 v[19:20], v[15:16], v[10:11]
	v_mul_f64 v[21:22], v[17:18], v[10:11]
	;; [unrolled: 1-line block ×3, first 2 shown]
	v_fma_f64 v[15:16], v[15:16], v[10:11], -v[19:20]
	v_fma_f64 v[17:18], v[17:18], v[10:11], -v[21:22]
	;; [unrolled: 1-line block ×3, first 2 shown]
	v_add_f64 v[23:24], v[21:22], v[15:16]
	v_add_f64 v[25:26], v[23:24], -v[21:22]
	v_add_f64 v[31:32], v[19:20], v[23:24]
	v_add_f64 v[29:30], v[23:24], -v[25:26]
	v_add_f64 v[15:16], v[15:16], -v[25:26]
	v_ldexp_f64 v[25:26], v[31:32], -2
	v_add_f64 v[19:20], v[31:32], -v[19:20]
	v_add_f64 v[21:22], v[21:22], -v[29:30]
	v_add_f64 v[29:30], v[33:34], v[17:18]
	v_cmp_neq_f64_e64 vcc_lo, 0x7ff00000, |v[25:26]|
	v_add_f64 v[19:20], v[23:24], -v[19:20]
	v_add_f64 v[15:16], v[15:16], v[21:22]
	v_fract_f64_e32 v[21:22], v[25:26]
	v_add_f64 v[23:24], v[29:30], v[15:16]
	v_ldexp_f64 v[21:22], v[21:22], 2
	v_add_f64 v[25:26], v[19:20], v[23:24]
	v_cndmask_b32_e32 v22, 0, v22, vcc_lo
	v_cndmask_b32_e32 v21, 0, v21, vcc_lo
	v_add_f64 v[31:32], v[25:26], v[21:22]
	v_add_f64 v[19:20], v[25:26], -v[19:20]
	v_cmp_gt_f64_e32 vcc_lo, 0, v[31:32]
	v_add_f64 v[31:32], v[29:30], -v[33:34]
	v_add_f64 v[19:20], v[23:24], -v[19:20]
	v_cndmask_b32_e64 v36, 0, 0x40100000, vcc_lo
	v_add_f64 v[40:41], v[29:30], -v[31:32]
	v_add_f64 v[17:18], v[17:18], -v[31:32]
	v_add_f64 v[21:22], v[21:22], v[35:36]
	v_add_f64 v[36:37], v[23:24], -v[29:30]
	v_add_f64 v[31:32], v[33:34], -v[40:41]
	v_add_f64 v[38:39], v[25:26], v[21:22]
	;; [unrolled: 3-line block ×3, first 2 shown]
	v_cvt_i32_f64_e32 v4, v[38:39]
	v_add_f64 v[29:30], v[29:30], -v[42:43]
	v_cvt_f64_i32_e32 v[36:37], v4
	v_add_f64 v[15:16], v[15:16], v[29:30]
	v_add_f64 v[21:22], v[21:22], -v[36:37]
	v_add_f64 v[15:16], v[17:18], v[15:16]
	v_add_f64 v[17:18], v[25:26], v[21:22]
	;; [unrolled: 1-line block ×3, first 2 shown]
	v_add_f64 v[15:16], v[17:18], -v[21:22]
	v_cmp_le_f64_e32 vcc_lo, 0.5, v[17:18]
	v_add_f64 v[10:11], v[19:20], v[10:11]
	v_add_f64 v[15:16], v[25:26], -v[15:16]
	v_cndmask_b32_e64 v36, 0, 0x3ff00000, vcc_lo
	v_add_co_ci_u32_e64 v4, null, 0, v4, vcc_lo
	v_add_f64 v[10:11], v[10:11], v[15:16]
	v_add_f64 v[15:16], v[17:18], -v[35:36]
	v_add_f64 v[17:18], v[15:16], v[10:11]
	v_mul_f64 v[19:20], v[17:18], s[8:9]
	v_add_f64 v[15:16], v[17:18], -v[15:16]
	v_fma_f64 v[21:22], v[17:18], s[8:9], -v[19:20]
	v_add_f64 v[10:11], v[10:11], -v[15:16]
	v_fma_f64 v[15:16], v[17:18], s[10:11], v[21:22]
	v_fma_f64 v[15:16], v[10:11], s[8:9], v[15:16]
	v_add_f64 v[10:11], v[19:20], v[15:16]
	v_add_f64 v[17:18], v[10:11], -v[19:20]
	v_add_f64 v[15:16], v[15:16], -v[17:18]
.LBB5_76:
	s_andn2_saveexec_b32 s0, s0
	s_cbranch_execz .LBB5_78
; %bb.77:
	s_mov_b32 s8, 0x6dc9c883
	s_mov_b32 s9, 0x3fe45f30
	;; [unrolled: 1-line block ×3, first 2 shown]
	v_mul_f64 v[10:11], |v[13:14]|, s[8:9]
	s_mov_b32 s8, 0x54442d18
	s_mov_b32 s9, 0xbff921fb
	s_mov_b32 s10, 0x33145c00
	v_rndne_f64_e32 v[17:18], v[10:11]
	v_fma_f64 v[10:11], v[17:18], s[8:9], |v[13:14]|
	v_mul_f64 v[15:16], v[17:18], s[10:11]
	s_mov_b32 s8, 0x252049c0
	s_mov_b32 s9, 0xb97b839a
	v_cvt_i32_f64_e32 v4, v[17:18]
	v_fma_f64 v[21:22], v[17:18], s[10:11], v[10:11]
	v_add_f64 v[19:20], v[10:11], v[15:16]
	s_mov_b32 s11, 0x3c91a626
	v_add_f64 v[10:11], v[10:11], -v[19:20]
	v_add_f64 v[19:20], v[19:20], -v[21:22]
	v_add_f64 v[10:11], v[10:11], v[15:16]
	v_fma_f64 v[15:16], v[17:18], s[10:11], v[15:16]
	v_add_f64 v[10:11], v[19:20], v[10:11]
	v_add_f64 v[10:11], v[10:11], -v[15:16]
	v_fma_f64 v[15:16], v[17:18], s[8:9], v[10:11]
	v_add_f64 v[10:11], v[21:22], v[15:16]
	v_add_f64 v[19:20], v[10:11], -v[21:22]
	v_add_f64 v[15:16], v[15:16], -v[19:20]
.LBB5_78:
	s_or_b32 exec_lo, exec_lo, s0
	v_mul_f64 v[17:18], v[10:11], v[10:11]
	s_mov_b32 s8, 0xb42fdfa7
	s_mov_b32 s10, 0xf9a43bb8
	;; [unrolled: 1-line block ×6, first 2 shown]
	v_mul_f64 v[27:28], v[15:16], 0.5
	v_cmp_class_f64_e64 s0, v[13:14], 0x1f8
	v_and_b32_e32 v6, 1, v4
	v_lshlrev_b32_e32 v4, 30, v4
	v_cmp_eq_u32_e32 vcc_lo, 0, v6
	v_xor_b32_e32 v4, v4, v14
	v_and_b32_e32 v4, 0x80000000, v4
	v_fma_f64 v[19:20], v[17:18], s[10:11], s[8:9]
	s_mov_b32 s8, 0x9037ab78
	s_mov_b32 s10, 0x46cc5e42
	;; [unrolled: 1-line block ×4, first 2 shown]
	v_mul_f64 v[23:24], v[17:18], 0.5
	v_fma_f64 v[21:22], v[17:18], s[10:11], s[8:9]
	s_mov_b32 s8, 0xa17f65f6
	s_mov_b32 s10, 0x19e83e5c
	;; [unrolled: 1-line block ×4, first 2 shown]
	v_mul_f64 v[29:30], v[10:11], -v[17:18]
	v_fma_f64 v[19:20], v[17:18], v[19:20], s[12:13]
	v_add_f64 v[25:26], -v[23:24], 1.0
	v_fma_f64 v[21:22], v[17:18], v[21:22], s[8:9]
	s_mov_b32 s8, 0x19f4ec90
	s_mov_b32 s9, 0x3efa01a0
	v_fma_f64 v[19:20], v[17:18], v[19:20], s[10:11]
	s_mov_b32 s10, 0x11110bb3
	s_mov_b32 s11, 0x3f811111
	v_add_f64 v[31:32], -v[25:26], 1.0
	v_fma_f64 v[21:22], v[17:18], v[21:22], s[8:9]
	s_mov_b32 s8, 0x16c16967
	s_mov_b32 s9, 0xbf56c16c
	v_fma_f64 v[19:20], v[17:18], v[19:20], s[10:11]
	v_add_f64 v[23:24], v[31:32], -v[23:24]
	v_fma_f64 v[21:22], v[17:18], v[21:22], s[8:9]
	s_mov_b32 s9, 0x3fa55555
	s_mov_b32 s8, 0x55555555
	v_fma_f64 v[19:20], v[29:30], v[19:20], v[27:28]
	v_mul_f64 v[27:28], v[17:18], v[17:18]
	v_fma_f64 v[23:24], v[10:11], -v[15:16], v[23:24]
	v_fma_f64 v[21:22], v[17:18], v[21:22], s[8:9]
	s_mov_b32 s9, 0xbfc55555
	v_fma_f64 v[15:16], v[17:18], v[19:20], -v[15:16]
	v_fma_f64 v[17:18], v[27:28], v[21:22], v[23:24]
	v_fma_f64 v[15:16], v[29:30], s[8:9], v[15:16]
	v_add_f64 v[17:18], v[25:26], v[17:18]
	v_add_f64 v[10:11], v[10:11], -v[15:16]
	v_cndmask_b32_e32 v6, v17, v10, vcc_lo
	v_cndmask_b32_e32 v10, v18, v11, vcc_lo
	v_xor_b32_e32 v4, v10, v4
	v_cndmask_b32_e64 v10, 0, v6, s0
	v_cndmask_b32_e64 v11, 0x7ff80000, v4, s0
	v_div_scale_f64 v[15:16], null, v[13:14], v[13:14], v[10:11]
	v_rcp_f64_e32 v[17:18], v[15:16]
	v_fma_f64 v[19:20], -v[15:16], v[17:18], 1.0
	v_fma_f64 v[17:18], v[17:18], v[19:20], v[17:18]
	v_fma_f64 v[19:20], -v[15:16], v[17:18], 1.0
	v_fma_f64 v[17:18], v[17:18], v[19:20], v[17:18]
	v_div_scale_f64 v[19:20], vcc_lo, v[10:11], v[13:14], v[10:11]
	v_mul_f64 v[21:22], v[19:20], v[17:18]
	v_fma_f64 v[15:16], -v[15:16], v[21:22], v[19:20]
	v_div_fmas_f64 v[15:16], v[15:16], v[17:18], v[21:22]
	v_div_fixup_f64 v[10:11], v[15:16], v[13:14], v[10:11]
                                        ; implicit-def: $vgpr13_vgpr14
.LBB5_79:
	s_andn2_saveexec_b32 s0, s2
	s_cbranch_execz .LBB5_81
; %bb.80:
	v_mul_f64 v[10:11], v[13:14], v[13:14]
	s_mov_b32 s2, 0x67f544e4
	s_mov_b32 s8, 0x13a86d09
	;; [unrolled: 1-line block ×4, first 2 shown]
	v_fma_f64 v[13:14], v[10:11], s[8:9], s[2:3]
	s_mov_b32 s2, 0xa556c734
	s_mov_b32 s3, 0x3ec71de3
	v_fma_f64 v[13:14], v[10:11], v[13:14], s[2:3]
	s_mov_b32 s2, 0x1a01a01a
	s_mov_b32 s3, 0xbf2a01a0
	;; [unrolled: 3-line block ×4, first 2 shown]
	v_fma_f64 v[13:14], v[10:11], v[13:14], s[2:3]
	v_fma_f64 v[10:11], v[10:11], v[13:14], 1.0
.LBB5_81:
	s_or_b32 exec_lo, exec_lo, s0
.LBB5_82:
	s_or_b32 exec_lo, exec_lo, s1
	global_load_dwordx2 v[12:13], v12, s[6:7]
	s_mov_b32 s1, exec_lo
	s_waitcnt vmcnt(0)
	v_cmpx_neq_f64_e64 0x7ff00000, |v[12:13]|
	s_cbranch_execz .LBB5_92
; %bb.83:
	s_mov_b32 s2, exec_lo
                                        ; implicit-def: $vgpr8_vgpr9
	v_cmpx_nlt_f64_e64 |v[12:13]|, 0.5
	s_xor_b32 s2, exec_lo, s2
	s_cbranch_execz .LBB5_89
; %bb.84:
	v_cmp_ngt_f64_e64 s0, 0x41d00000, |v[12:13]|
                                        ; implicit-def: $vgpr4
                                        ; implicit-def: $vgpr8_vgpr9
                                        ; implicit-def: $vgpr14_vgpr15
	s_and_saveexec_b32 s3, s0
	s_xor_b32 s0, exec_lo, s3
	s_cbranch_execz .LBB5_86
; %bb.85:
	v_ldexp_f64 v[8:9], |v[12:13]|, 0xffffff80
	v_cmp_le_f64_e64 vcc_lo, 0x7b000000, |v[12:13]|
	v_trig_preop_f64 v[14:15], |v[12:13]|, 0
	v_and_b32_e32 v4, 0x7fffffff, v13
	v_trig_preop_f64 v[16:17], |v[12:13]|, 1
	v_trig_preop_f64 v[26:27], |v[12:13]|, 2
	v_mov_b32_e32 v34, 0
	s_mov_b32 s8, 0x54442d18
	s_mov_b32 s9, 0x3ff921fb
	s_mov_b32 s10, 0x33145c07
	s_mov_b32 s11, 0x3c91a626
	v_cndmask_b32_e32 v9, v4, v9, vcc_lo
	v_cndmask_b32_e32 v8, v12, v8, vcc_lo
	v_mul_f64 v[18:19], v[14:15], v[8:9]
	v_mul_f64 v[20:21], v[16:17], v[8:9]
	v_mul_f64 v[32:33], v[26:27], v[8:9]
	v_fma_f64 v[14:15], v[14:15], v[8:9], -v[18:19]
	v_fma_f64 v[16:17], v[16:17], v[8:9], -v[20:21]
	;; [unrolled: 1-line block ×3, first 2 shown]
	v_add_f64 v[22:23], v[20:21], v[14:15]
	v_add_f64 v[24:25], v[22:23], -v[20:21]
	v_add_f64 v[30:31], v[18:19], v[22:23]
	v_add_f64 v[28:29], v[22:23], -v[24:25]
	v_add_f64 v[14:15], v[14:15], -v[24:25]
	v_ldexp_f64 v[24:25], v[30:31], -2
	v_add_f64 v[18:19], v[30:31], -v[18:19]
	v_add_f64 v[20:21], v[20:21], -v[28:29]
	v_add_f64 v[28:29], v[32:33], v[16:17]
	v_cmp_neq_f64_e64 vcc_lo, 0x7ff00000, |v[24:25]|
	v_add_f64 v[18:19], v[22:23], -v[18:19]
	v_add_f64 v[14:15], v[14:15], v[20:21]
	v_fract_f64_e32 v[20:21], v[24:25]
	v_add_f64 v[22:23], v[28:29], v[14:15]
	v_ldexp_f64 v[20:21], v[20:21], 2
	v_add_f64 v[24:25], v[18:19], v[22:23]
	v_cndmask_b32_e32 v21, 0, v21, vcc_lo
	v_cndmask_b32_e32 v20, 0, v20, vcc_lo
	v_add_f64 v[30:31], v[24:25], v[20:21]
	v_add_f64 v[18:19], v[24:25], -v[18:19]
	v_cmp_gt_f64_e32 vcc_lo, 0, v[30:31]
	v_add_f64 v[30:31], v[28:29], -v[32:33]
	v_add_f64 v[18:19], v[22:23], -v[18:19]
	v_cndmask_b32_e64 v35, 0, 0x40100000, vcc_lo
	v_add_f64 v[39:40], v[28:29], -v[30:31]
	v_add_f64 v[16:17], v[16:17], -v[30:31]
	v_add_f64 v[20:21], v[20:21], v[34:35]
	v_add_f64 v[35:36], v[22:23], -v[28:29]
	v_add_f64 v[30:31], v[32:33], -v[39:40]
	v_add_f64 v[37:38], v[24:25], v[20:21]
	;; [unrolled: 3-line block ×3, first 2 shown]
	v_cvt_i32_f64_e32 v4, v[37:38]
	v_add_f64 v[28:29], v[28:29], -v[41:42]
	v_cvt_f64_i32_e32 v[35:36], v4
	v_add_f64 v[14:15], v[14:15], v[28:29]
	v_add_f64 v[20:21], v[20:21], -v[35:36]
	v_add_f64 v[14:15], v[16:17], v[14:15]
	v_add_f64 v[16:17], v[24:25], v[20:21]
	;; [unrolled: 1-line block ×3, first 2 shown]
	v_add_f64 v[14:15], v[16:17], -v[20:21]
	v_cmp_le_f64_e32 vcc_lo, 0.5, v[16:17]
	v_add_f64 v[8:9], v[18:19], v[8:9]
	v_add_f64 v[14:15], v[24:25], -v[14:15]
	v_cndmask_b32_e64 v35, 0, 0x3ff00000, vcc_lo
	v_add_co_ci_u32_e64 v4, null, 0, v4, vcc_lo
	v_add_f64 v[8:9], v[8:9], v[14:15]
	v_add_f64 v[14:15], v[16:17], -v[34:35]
	v_add_f64 v[16:17], v[14:15], v[8:9]
	v_mul_f64 v[18:19], v[16:17], s[8:9]
	v_add_f64 v[14:15], v[16:17], -v[14:15]
	v_fma_f64 v[20:21], v[16:17], s[8:9], -v[18:19]
	v_add_f64 v[8:9], v[8:9], -v[14:15]
	v_fma_f64 v[14:15], v[16:17], s[10:11], v[20:21]
	v_fma_f64 v[14:15], v[8:9], s[8:9], v[14:15]
	v_add_f64 v[8:9], v[18:19], v[14:15]
	v_add_f64 v[16:17], v[8:9], -v[18:19]
	v_add_f64 v[14:15], v[14:15], -v[16:17]
.LBB5_86:
	s_andn2_saveexec_b32 s0, s0
	s_cbranch_execz .LBB5_88
; %bb.87:
	s_mov_b32 s8, 0x6dc9c883
	s_mov_b32 s9, 0x3fe45f30
	;; [unrolled: 1-line block ×3, first 2 shown]
	v_mul_f64 v[8:9], |v[12:13]|, s[8:9]
	s_mov_b32 s8, 0x54442d18
	s_mov_b32 s9, 0xbff921fb
	;; [unrolled: 1-line block ×3, first 2 shown]
	v_rndne_f64_e32 v[16:17], v[8:9]
	v_fma_f64 v[8:9], v[16:17], s[8:9], |v[12:13]|
	v_mul_f64 v[14:15], v[16:17], s[10:11]
	s_mov_b32 s8, 0x252049c0
	s_mov_b32 s9, 0xb97b839a
	v_cvt_i32_f64_e32 v4, v[16:17]
	v_fma_f64 v[20:21], v[16:17], s[10:11], v[8:9]
	v_add_f64 v[18:19], v[8:9], v[14:15]
	s_mov_b32 s11, 0x3c91a626
	v_add_f64 v[8:9], v[8:9], -v[18:19]
	v_add_f64 v[18:19], v[18:19], -v[20:21]
	v_add_f64 v[8:9], v[8:9], v[14:15]
	v_fma_f64 v[14:15], v[16:17], s[10:11], v[14:15]
	v_add_f64 v[8:9], v[18:19], v[8:9]
	v_add_f64 v[8:9], v[8:9], -v[14:15]
	v_fma_f64 v[14:15], v[16:17], s[8:9], v[8:9]
	v_add_f64 v[8:9], v[20:21], v[14:15]
	v_add_f64 v[18:19], v[8:9], -v[20:21]
	v_add_f64 v[14:15], v[14:15], -v[18:19]
.LBB5_88:
	s_or_b32 exec_lo, exec_lo, s0
	v_mul_f64 v[16:17], v[8:9], v[8:9]
	s_mov_b32 s8, 0xb42fdfa7
	s_mov_b32 s10, 0xf9a43bb8
	;; [unrolled: 1-line block ×6, first 2 shown]
	v_mul_f64 v[26:27], v[14:15], 0.5
	v_cmp_class_f64_e64 s0, v[12:13], 0x1f8
	v_and_b32_e32 v6, 1, v4
	v_lshlrev_b32_e32 v4, 30, v4
	v_cmp_eq_u32_e32 vcc_lo, 0, v6
	v_xor_b32_e32 v4, v4, v13
	v_and_b32_e32 v4, 0x80000000, v4
	v_fma_f64 v[18:19], v[16:17], s[10:11], s[8:9]
	s_mov_b32 s8, 0x9037ab78
	s_mov_b32 s10, 0x46cc5e42
	;; [unrolled: 1-line block ×4, first 2 shown]
	v_mul_f64 v[22:23], v[16:17], 0.5
	v_fma_f64 v[20:21], v[16:17], s[10:11], s[8:9]
	s_mov_b32 s8, 0xa17f65f6
	s_mov_b32 s10, 0x19e83e5c
	;; [unrolled: 1-line block ×4, first 2 shown]
	v_mul_f64 v[28:29], v[8:9], -v[16:17]
	v_fma_f64 v[18:19], v[16:17], v[18:19], s[12:13]
	v_add_f64 v[24:25], -v[22:23], 1.0
	v_fma_f64 v[20:21], v[16:17], v[20:21], s[8:9]
	s_mov_b32 s8, 0x19f4ec90
	s_mov_b32 s9, 0x3efa01a0
	v_fma_f64 v[18:19], v[16:17], v[18:19], s[10:11]
	s_mov_b32 s10, 0x11110bb3
	s_mov_b32 s11, 0x3f811111
	v_add_f64 v[30:31], -v[24:25], 1.0
	v_fma_f64 v[20:21], v[16:17], v[20:21], s[8:9]
	s_mov_b32 s8, 0x16c16967
	s_mov_b32 s9, 0xbf56c16c
	v_fma_f64 v[18:19], v[16:17], v[18:19], s[10:11]
	v_add_f64 v[22:23], v[30:31], -v[22:23]
	v_fma_f64 v[20:21], v[16:17], v[20:21], s[8:9]
	s_mov_b32 s9, 0x3fa55555
	s_mov_b32 s8, 0x55555555
	v_fma_f64 v[18:19], v[28:29], v[18:19], v[26:27]
	v_mul_f64 v[26:27], v[16:17], v[16:17]
	v_fma_f64 v[22:23], v[8:9], -v[14:15], v[22:23]
	v_fma_f64 v[20:21], v[16:17], v[20:21], s[8:9]
	s_mov_b32 s9, 0xbfc55555
	v_fma_f64 v[14:15], v[16:17], v[18:19], -v[14:15]
	v_fma_f64 v[16:17], v[26:27], v[20:21], v[22:23]
	v_fma_f64 v[14:15], v[28:29], s[8:9], v[14:15]
	v_add_f64 v[16:17], v[24:25], v[16:17]
	v_add_f64 v[8:9], v[8:9], -v[14:15]
	v_cndmask_b32_e32 v6, v16, v8, vcc_lo
	v_cndmask_b32_e32 v8, v17, v9, vcc_lo
	v_xor_b32_e32 v4, v8, v4
	v_cndmask_b32_e64 v8, 0, v6, s0
	v_cndmask_b32_e64 v9, 0x7ff80000, v4, s0
	v_div_scale_f64 v[14:15], null, v[12:13], v[12:13], v[8:9]
	v_rcp_f64_e32 v[16:17], v[14:15]
	v_fma_f64 v[18:19], -v[14:15], v[16:17], 1.0
	v_fma_f64 v[16:17], v[16:17], v[18:19], v[16:17]
	v_fma_f64 v[18:19], -v[14:15], v[16:17], 1.0
	v_fma_f64 v[16:17], v[16:17], v[18:19], v[16:17]
	v_div_scale_f64 v[18:19], vcc_lo, v[8:9], v[12:13], v[8:9]
	v_mul_f64 v[20:21], v[18:19], v[16:17]
	v_fma_f64 v[14:15], -v[14:15], v[20:21], v[18:19]
	v_div_fmas_f64 v[14:15], v[14:15], v[16:17], v[20:21]
	v_div_fixup_f64 v[8:9], v[14:15], v[12:13], v[8:9]
                                        ; implicit-def: $vgpr12_vgpr13
.LBB5_89:
	s_andn2_saveexec_b32 s0, s2
	s_cbranch_execz .LBB5_91
; %bb.90:
	v_mul_f64 v[8:9], v[12:13], v[12:13]
	s_mov_b32 s2, 0x67f544e4
	s_mov_b32 s8, 0x13a86d09
	;; [unrolled: 1-line block ×4, first 2 shown]
	v_fma_f64 v[12:13], v[8:9], s[8:9], s[2:3]
	s_mov_b32 s2, 0xa556c734
	s_mov_b32 s3, 0x3ec71de3
	v_fma_f64 v[12:13], v[8:9], v[12:13], s[2:3]
	s_mov_b32 s2, 0x1a01a01a
	s_mov_b32 s3, 0xbf2a01a0
	;; [unrolled: 3-line block ×4, first 2 shown]
	v_fma_f64 v[12:13], v[8:9], v[12:13], s[2:3]
	v_fma_f64 v[8:9], v[8:9], v[12:13], 1.0
.LBB5_91:
	s_or_b32 exec_lo, exec_lo, s0
.LBB5_92:
	s_or_b32 exec_lo, exec_lo, s1
	global_load_dwordx2 v[14:15], v7, s[6:7]
	v_mov_b32_e32 v6, 0
	v_mov_b32_e32 v12, 0
	;; [unrolled: 1-line block ×4, first 2 shown]
	s_mov_b32 s1, exec_lo
	s_waitcnt vmcnt(0)
	v_cmpx_neq_f64_e64 0x7ff00000, |v[14:15]|
	s_cbranch_execz .LBB5_102
; %bb.93:
	s_mov_b32 s2, exec_lo
                                        ; implicit-def: $vgpr12_vgpr13
	v_cmpx_nlt_f64_e64 |v[14:15]|, 0.5
	s_xor_b32 s2, exec_lo, s2
	s_cbranch_execz .LBB5_99
; %bb.94:
	v_cmp_ngt_f64_e64 s0, 0x41d00000, |v[14:15]|
                                        ; implicit-def: $vgpr4
                                        ; implicit-def: $vgpr12_vgpr13
                                        ; implicit-def: $vgpr16_vgpr17
	s_and_saveexec_b32 s3, s0
	s_xor_b32 s0, exec_lo, s3
	s_cbranch_execz .LBB5_96
; %bb.95:
	v_ldexp_f64 v[12:13], |v[14:15]|, 0xffffff80
	v_cmp_le_f64_e64 vcc_lo, 0x7b000000, |v[14:15]|
	v_trig_preop_f64 v[16:17], |v[14:15]|, 0
	v_and_b32_e32 v4, 0x7fffffff, v15
	v_trig_preop_f64 v[18:19], |v[14:15]|, 1
	v_trig_preop_f64 v[28:29], |v[14:15]|, 2
	v_mov_b32_e32 v36, 0
	s_mov_b32 s8, 0x54442d18
	s_mov_b32 s9, 0x3ff921fb
	;; [unrolled: 1-line block ×4, first 2 shown]
	v_cndmask_b32_e32 v13, v4, v13, vcc_lo
	v_cndmask_b32_e32 v12, v14, v12, vcc_lo
	v_mul_f64 v[20:21], v[16:17], v[12:13]
	v_mul_f64 v[22:23], v[18:19], v[12:13]
	;; [unrolled: 1-line block ×3, first 2 shown]
	v_fma_f64 v[16:17], v[16:17], v[12:13], -v[20:21]
	v_fma_f64 v[18:19], v[18:19], v[12:13], -v[22:23]
	;; [unrolled: 1-line block ×3, first 2 shown]
	v_add_f64 v[24:25], v[22:23], v[16:17]
	v_add_f64 v[26:27], v[24:25], -v[22:23]
	v_add_f64 v[32:33], v[20:21], v[24:25]
	v_add_f64 v[30:31], v[24:25], -v[26:27]
	v_add_f64 v[16:17], v[16:17], -v[26:27]
	v_ldexp_f64 v[26:27], v[32:33], -2
	v_add_f64 v[20:21], v[32:33], -v[20:21]
	v_add_f64 v[22:23], v[22:23], -v[30:31]
	v_add_f64 v[30:31], v[34:35], v[18:19]
	v_cmp_neq_f64_e64 vcc_lo, 0x7ff00000, |v[26:27]|
	v_add_f64 v[20:21], v[24:25], -v[20:21]
	v_add_f64 v[16:17], v[16:17], v[22:23]
	v_fract_f64_e32 v[22:23], v[26:27]
	v_add_f64 v[24:25], v[30:31], v[16:17]
	v_ldexp_f64 v[22:23], v[22:23], 2
	v_add_f64 v[26:27], v[20:21], v[24:25]
	v_cndmask_b32_e32 v23, 0, v23, vcc_lo
	v_cndmask_b32_e32 v22, 0, v22, vcc_lo
	v_add_f64 v[32:33], v[26:27], v[22:23]
	v_add_f64 v[20:21], v[26:27], -v[20:21]
	v_cmp_gt_f64_e32 vcc_lo, 0, v[32:33]
	v_add_f64 v[32:33], v[30:31], -v[34:35]
	v_add_f64 v[20:21], v[24:25], -v[20:21]
	v_cndmask_b32_e64 v37, 0, 0x40100000, vcc_lo
	v_add_f64 v[41:42], v[30:31], -v[32:33]
	v_add_f64 v[18:19], v[18:19], -v[32:33]
	v_add_f64 v[22:23], v[22:23], v[36:37]
	v_add_f64 v[37:38], v[24:25], -v[30:31]
	v_add_f64 v[32:33], v[34:35], -v[41:42]
	v_add_f64 v[39:40], v[26:27], v[22:23]
	;; [unrolled: 3-line block ×3, first 2 shown]
	v_cvt_i32_f64_e32 v4, v[39:40]
	v_add_f64 v[30:31], v[30:31], -v[43:44]
	v_cvt_f64_i32_e32 v[37:38], v4
	v_add_f64 v[16:17], v[16:17], v[30:31]
	v_add_f64 v[22:23], v[22:23], -v[37:38]
	v_add_f64 v[16:17], v[18:19], v[16:17]
	v_add_f64 v[18:19], v[26:27], v[22:23]
	;; [unrolled: 1-line block ×3, first 2 shown]
	v_add_f64 v[16:17], v[18:19], -v[22:23]
	v_cmp_le_f64_e32 vcc_lo, 0.5, v[18:19]
	v_add_f64 v[12:13], v[20:21], v[12:13]
	v_add_f64 v[16:17], v[26:27], -v[16:17]
	v_cndmask_b32_e64 v37, 0, 0x3ff00000, vcc_lo
	v_add_co_ci_u32_e64 v4, null, 0, v4, vcc_lo
	v_add_f64 v[12:13], v[12:13], v[16:17]
	v_add_f64 v[16:17], v[18:19], -v[36:37]
	v_add_f64 v[18:19], v[16:17], v[12:13]
	v_mul_f64 v[20:21], v[18:19], s[8:9]
	v_add_f64 v[16:17], v[18:19], -v[16:17]
	v_fma_f64 v[22:23], v[18:19], s[8:9], -v[20:21]
	v_add_f64 v[12:13], v[12:13], -v[16:17]
	v_fma_f64 v[16:17], v[18:19], s[10:11], v[22:23]
	v_fma_f64 v[16:17], v[12:13], s[8:9], v[16:17]
	v_add_f64 v[12:13], v[20:21], v[16:17]
	v_add_f64 v[18:19], v[12:13], -v[20:21]
	v_add_f64 v[16:17], v[16:17], -v[18:19]
.LBB5_96:
	s_andn2_saveexec_b32 s0, s0
	s_cbranch_execz .LBB5_98
; %bb.97:
	s_mov_b32 s8, 0x6dc9c883
	s_mov_b32 s9, 0x3fe45f30
	;; [unrolled: 1-line block ×3, first 2 shown]
	v_mul_f64 v[12:13], |v[14:15]|, s[8:9]
	s_mov_b32 s8, 0x54442d18
	s_mov_b32 s9, 0xbff921fb
	;; [unrolled: 1-line block ×3, first 2 shown]
	v_rndne_f64_e32 v[18:19], v[12:13]
	v_fma_f64 v[12:13], v[18:19], s[8:9], |v[14:15]|
	v_mul_f64 v[16:17], v[18:19], s[10:11]
	s_mov_b32 s8, 0x252049c0
	s_mov_b32 s9, 0xb97b839a
	v_cvt_i32_f64_e32 v4, v[18:19]
	v_fma_f64 v[22:23], v[18:19], s[10:11], v[12:13]
	v_add_f64 v[20:21], v[12:13], v[16:17]
	s_mov_b32 s11, 0x3c91a626
	v_add_f64 v[12:13], v[12:13], -v[20:21]
	v_add_f64 v[20:21], v[20:21], -v[22:23]
	v_add_f64 v[12:13], v[12:13], v[16:17]
	v_fma_f64 v[16:17], v[18:19], s[10:11], v[16:17]
	v_add_f64 v[12:13], v[20:21], v[12:13]
	v_add_f64 v[12:13], v[12:13], -v[16:17]
	v_fma_f64 v[16:17], v[18:19], s[8:9], v[12:13]
	v_add_f64 v[12:13], v[22:23], v[16:17]
	v_add_f64 v[20:21], v[12:13], -v[22:23]
	v_add_f64 v[16:17], v[16:17], -v[20:21]
.LBB5_98:
	s_or_b32 exec_lo, exec_lo, s0
	v_mul_f64 v[18:19], v[12:13], v[12:13]
	s_mov_b32 s8, 0xb42fdfa7
	s_mov_b32 s10, 0xf9a43bb8
	;; [unrolled: 1-line block ×6, first 2 shown]
	v_mul_f64 v[28:29], v[16:17], 0.5
	v_cmp_class_f64_e64 s0, v[14:15], 0x1f8
	v_fma_f64 v[20:21], v[18:19], s[10:11], s[8:9]
	s_mov_b32 s8, 0x9037ab78
	s_mov_b32 s10, 0x46cc5e42
	;; [unrolled: 1-line block ×4, first 2 shown]
	v_mul_f64 v[24:25], v[18:19], 0.5
	v_fma_f64 v[22:23], v[18:19], s[10:11], s[8:9]
	s_mov_b32 s8, 0xa17f65f6
	s_mov_b32 s10, 0x19e83e5c
	;; [unrolled: 1-line block ×4, first 2 shown]
	v_mul_f64 v[30:31], v[12:13], -v[18:19]
	v_fma_f64 v[20:21], v[18:19], v[20:21], s[12:13]
	v_add_f64 v[26:27], -v[24:25], 1.0
	v_fma_f64 v[22:23], v[18:19], v[22:23], s[8:9]
	s_mov_b32 s8, 0x19f4ec90
	s_mov_b32 s9, 0x3efa01a0
	v_fma_f64 v[20:21], v[18:19], v[20:21], s[10:11]
	s_mov_b32 s10, 0x11110bb3
	s_mov_b32 s11, 0x3f811111
	v_add_f64 v[32:33], -v[26:27], 1.0
	v_fma_f64 v[22:23], v[18:19], v[22:23], s[8:9]
	s_mov_b32 s8, 0x16c16967
	s_mov_b32 s9, 0xbf56c16c
	v_fma_f64 v[20:21], v[18:19], v[20:21], s[10:11]
	v_add_f64 v[24:25], v[32:33], -v[24:25]
	v_fma_f64 v[22:23], v[18:19], v[22:23], s[8:9]
	s_mov_b32 s9, 0x3fa55555
	s_mov_b32 s8, 0x55555555
	v_fma_f64 v[20:21], v[30:31], v[20:21], v[28:29]
	v_mul_f64 v[28:29], v[18:19], v[18:19]
	v_fma_f64 v[24:25], v[12:13], -v[16:17], v[24:25]
	v_fma_f64 v[22:23], v[18:19], v[22:23], s[8:9]
	s_mov_b32 s9, 0xbfc55555
	v_fma_f64 v[16:17], v[18:19], v[20:21], -v[16:17]
	v_fma_f64 v[18:19], v[28:29], v[22:23], v[24:25]
	v_fma_f64 v[16:17], v[30:31], s[8:9], v[16:17]
	v_add_f64 v[18:19], v[26:27], v[18:19]
	v_add_f64 v[12:13], v[12:13], -v[16:17]
	v_and_b32_e32 v16, 1, v4
	v_lshlrev_b32_e32 v4, 30, v4
	v_cmp_eq_u32_e32 vcc_lo, 0, v16
	v_xor_b32_e32 v4, v4, v15
	v_and_b32_e32 v4, 0x80000000, v4
	v_cndmask_b32_e32 v13, v19, v13, vcc_lo
	v_cndmask_b32_e32 v12, v18, v12, vcc_lo
	v_xor_b32_e32 v4, v13, v4
	v_cndmask_b32_e64 v12, 0, v12, s0
	v_cndmask_b32_e64 v13, 0x7ff80000, v4, s0
	v_div_scale_f64 v[16:17], null, v[14:15], v[14:15], v[12:13]
	v_rcp_f64_e32 v[18:19], v[16:17]
	v_fma_f64 v[20:21], -v[16:17], v[18:19], 1.0
	v_fma_f64 v[18:19], v[18:19], v[20:21], v[18:19]
	v_fma_f64 v[20:21], -v[16:17], v[18:19], 1.0
	v_fma_f64 v[18:19], v[18:19], v[20:21], v[18:19]
	v_div_scale_f64 v[20:21], vcc_lo, v[12:13], v[14:15], v[12:13]
	v_mul_f64 v[22:23], v[20:21], v[18:19]
	v_fma_f64 v[16:17], -v[16:17], v[22:23], v[20:21]
	v_div_fmas_f64 v[16:17], v[16:17], v[18:19], v[22:23]
	v_div_fixup_f64 v[12:13], v[16:17], v[14:15], v[12:13]
                                        ; implicit-def: $vgpr14_vgpr15
.LBB5_99:
	s_andn2_saveexec_b32 s0, s2
	s_cbranch_execz .LBB5_101
; %bb.100:
	v_mul_f64 v[12:13], v[14:15], v[14:15]
	s_mov_b32 s2, 0x67f544e4
	s_mov_b32 s8, 0x13a86d09
	;; [unrolled: 1-line block ×4, first 2 shown]
	v_fma_f64 v[14:15], v[12:13], s[8:9], s[2:3]
	s_mov_b32 s2, 0xa556c734
	s_mov_b32 s3, 0x3ec71de3
	v_fma_f64 v[14:15], v[12:13], v[14:15], s[2:3]
	s_mov_b32 s2, 0x1a01a01a
	s_mov_b32 s3, 0xbf2a01a0
	;; [unrolled: 3-line block ×4, first 2 shown]
	v_fma_f64 v[14:15], v[12:13], v[14:15], s[2:3]
	v_fma_f64 v[12:13], v[12:13], v[14:15], 1.0
.LBB5_101:
	s_or_b32 exec_lo, exec_lo, s0
.LBB5_102:
	s_or_b32 exec_lo, exec_lo, s1
	global_load_dwordx2 v[4:5], v5, s[6:7]
	s_mov_b32 s1, exec_lo
	s_waitcnt vmcnt(0)
	v_cmpx_neq_f64_e64 0x7ff00000, |v[4:5]|
	s_cbranch_execz .LBB5_112
; %bb.103:
	s_mov_b32 s2, exec_lo
                                        ; implicit-def: $vgpr6_vgpr7
	v_cmpx_nlt_f64_e64 |v[4:5]|, 0.5
	s_xor_b32 s2, exec_lo, s2
	s_cbranch_execz .LBB5_109
; %bb.104:
	v_cmp_ngt_f64_e64 s0, 0x41d00000, |v[4:5]|
                                        ; implicit-def: $vgpr16
                                        ; implicit-def: $vgpr6_vgpr7
                                        ; implicit-def: $vgpr14_vgpr15
	s_and_saveexec_b32 s3, s0
	s_xor_b32 s0, exec_lo, s3
	s_cbranch_execz .LBB5_106
; %bb.105:
	v_ldexp_f64 v[6:7], |v[4:5]|, 0xffffff80
	v_cmp_le_f64_e64 vcc_lo, 0x7b000000, |v[4:5]|
	v_trig_preop_f64 v[14:15], |v[4:5]|, 0
	v_and_b32_e32 v16, 0x7fffffff, v5
	v_trig_preop_f64 v[26:27], |v[4:5]|, 2
	v_mov_b32_e32 v34, 0
	s_mov_b32 s6, 0x54442d18
	s_mov_b32 s7, 0x3ff921fb
	s_mov_b32 s8, 0x33145c07
	s_mov_b32 s9, 0x3c91a626
	v_cndmask_b32_e32 v7, v16, v7, vcc_lo
	v_cndmask_b32_e32 v6, v4, v6, vcc_lo
	v_trig_preop_f64 v[16:17], |v[4:5]|, 1
	v_mul_f64 v[18:19], v[14:15], v[6:7]
	v_mul_f64 v[32:33], v[26:27], v[6:7]
	;; [unrolled: 1-line block ×3, first 2 shown]
	v_fma_f64 v[14:15], v[14:15], v[6:7], -v[18:19]
	v_fma_f64 v[16:17], v[16:17], v[6:7], -v[20:21]
	;; [unrolled: 1-line block ×3, first 2 shown]
	v_add_f64 v[22:23], v[20:21], v[14:15]
	v_add_f64 v[24:25], v[22:23], -v[20:21]
	v_add_f64 v[30:31], v[18:19], v[22:23]
	v_add_f64 v[28:29], v[22:23], -v[24:25]
	v_add_f64 v[14:15], v[14:15], -v[24:25]
	v_ldexp_f64 v[24:25], v[30:31], -2
	v_add_f64 v[18:19], v[30:31], -v[18:19]
	v_add_f64 v[20:21], v[20:21], -v[28:29]
	v_add_f64 v[28:29], v[32:33], v[16:17]
	v_cmp_neq_f64_e64 vcc_lo, 0x7ff00000, |v[24:25]|
	v_add_f64 v[18:19], v[22:23], -v[18:19]
	v_add_f64 v[14:15], v[14:15], v[20:21]
	v_fract_f64_e32 v[20:21], v[24:25]
	v_add_f64 v[22:23], v[28:29], v[14:15]
	v_ldexp_f64 v[20:21], v[20:21], 2
	v_add_f64 v[24:25], v[18:19], v[22:23]
	v_cndmask_b32_e32 v21, 0, v21, vcc_lo
	v_cndmask_b32_e32 v20, 0, v20, vcc_lo
	v_add_f64 v[30:31], v[24:25], v[20:21]
	v_add_f64 v[18:19], v[24:25], -v[18:19]
	v_cmp_gt_f64_e32 vcc_lo, 0, v[30:31]
	v_add_f64 v[30:31], v[28:29], -v[32:33]
	v_cndmask_b32_e64 v35, 0, 0x40100000, vcc_lo
	v_add_f64 v[39:40], v[28:29], -v[30:31]
	v_add_f64 v[16:17], v[16:17], -v[30:31]
	v_add_f64 v[20:21], v[20:21], v[34:35]
	v_add_f64 v[35:36], v[22:23], -v[28:29]
	v_add_f64 v[30:31], v[32:33], -v[39:40]
	v_add_f64 v[37:38], v[24:25], v[20:21]
	;; [unrolled: 3-line block ×3, first 2 shown]
	v_cvt_i32_f64_e32 v37, v[37:38]
	v_add_f64 v[28:29], v[28:29], -v[41:42]
	v_cvt_f64_i32_e32 v[35:36], v37
	v_add_f64 v[14:15], v[14:15], v[28:29]
	v_add_f64 v[20:21], v[20:21], -v[35:36]
	v_add_f64 v[14:15], v[16:17], v[14:15]
	v_add_f64 v[16:17], v[22:23], -v[18:19]
	v_add_f64 v[26:27], v[24:25], v[20:21]
	v_add_f64 v[6:7], v[6:7], v[14:15]
	v_add_f64 v[14:15], v[26:27], -v[20:21]
	v_cmp_le_f64_e32 vcc_lo, 0.5, v[26:27]
	v_add_f64 v[6:7], v[16:17], v[6:7]
	v_add_f64 v[14:15], v[24:25], -v[14:15]
	v_cndmask_b32_e64 v35, 0, 0x3ff00000, vcc_lo
	v_add_co_ci_u32_e64 v16, null, 0, v37, vcc_lo
	v_add_f64 v[6:7], v[6:7], v[14:15]
	v_add_f64 v[14:15], v[26:27], -v[34:35]
	v_add_f64 v[17:18], v[14:15], v[6:7]
	v_mul_f64 v[19:20], v[17:18], s[6:7]
	v_add_f64 v[14:15], v[17:18], -v[14:15]
	v_fma_f64 v[21:22], v[17:18], s[6:7], -v[19:20]
	v_add_f64 v[6:7], v[6:7], -v[14:15]
	v_fma_f64 v[14:15], v[17:18], s[8:9], v[21:22]
	v_fma_f64 v[14:15], v[6:7], s[6:7], v[14:15]
	v_add_f64 v[6:7], v[19:20], v[14:15]
	v_add_f64 v[17:18], v[6:7], -v[19:20]
	v_add_f64 v[14:15], v[14:15], -v[17:18]
.LBB5_106:
	s_andn2_saveexec_b32 s0, s0
	s_cbranch_execz .LBB5_108
; %bb.107:
	s_mov_b32 s6, 0x6dc9c883
	s_mov_b32 s7, 0x3fe45f30
	;; [unrolled: 1-line block ×3, first 2 shown]
	v_mul_f64 v[6:7], |v[4:5]|, s[6:7]
	s_mov_b32 s6, 0x54442d18
	s_mov_b32 s7, 0xbff921fb
	;; [unrolled: 1-line block ×3, first 2 shown]
	v_rndne_f64_e32 v[16:17], v[6:7]
	v_fma_f64 v[6:7], v[16:17], s[6:7], |v[4:5]|
	v_mul_f64 v[14:15], v[16:17], s[8:9]
	s_mov_b32 s6, 0x252049c0
	s_mov_b32 s7, 0xb97b839a
	v_fma_f64 v[20:21], v[16:17], s[8:9], v[6:7]
	v_add_f64 v[18:19], v[6:7], v[14:15]
	s_mov_b32 s9, 0x3c91a626
	v_add_f64 v[6:7], v[6:7], -v[18:19]
	v_add_f64 v[18:19], v[18:19], -v[20:21]
	v_add_f64 v[6:7], v[6:7], v[14:15]
	v_fma_f64 v[14:15], v[16:17], s[8:9], v[14:15]
	v_add_f64 v[6:7], v[18:19], v[6:7]
	v_add_f64 v[6:7], v[6:7], -v[14:15]
	v_fma_f64 v[14:15], v[16:17], s[6:7], v[6:7]
	v_cvt_i32_f64_e32 v16, v[16:17]
	v_add_f64 v[6:7], v[20:21], v[14:15]
	v_add_f64 v[18:19], v[6:7], -v[20:21]
	v_add_f64 v[14:15], v[14:15], -v[18:19]
.LBB5_108:
	s_or_b32 exec_lo, exec_lo, s0
	v_mul_f64 v[17:18], v[6:7], v[6:7]
	s_mov_b32 s6, 0xb42fdfa7
	s_mov_b32 s8, 0xf9a43bb8
	;; [unrolled: 1-line block ×6, first 2 shown]
	v_mul_f64 v[27:28], v[14:15], 0.5
	v_cmp_class_f64_e64 s0, v[4:5], 0x1f8
	v_fma_f64 v[19:20], v[17:18], s[8:9], s[6:7]
	s_mov_b32 s6, 0x9037ab78
	s_mov_b32 s8, 0x46cc5e42
	;; [unrolled: 1-line block ×4, first 2 shown]
	v_mul_f64 v[23:24], v[17:18], 0.5
	v_fma_f64 v[21:22], v[17:18], s[8:9], s[6:7]
	s_mov_b32 s6, 0xa17f65f6
	s_mov_b32 s8, 0x19e83e5c
	;; [unrolled: 1-line block ×4, first 2 shown]
	v_mul_f64 v[29:30], v[6:7], -v[17:18]
	v_fma_f64 v[19:20], v[17:18], v[19:20], s[10:11]
	v_add_f64 v[25:26], -v[23:24], 1.0
	v_fma_f64 v[21:22], v[17:18], v[21:22], s[6:7]
	s_mov_b32 s6, 0x19f4ec90
	s_mov_b32 s7, 0x3efa01a0
	v_fma_f64 v[19:20], v[17:18], v[19:20], s[8:9]
	s_mov_b32 s8, 0x11110bb3
	s_mov_b32 s9, 0x3f811111
	v_add_f64 v[31:32], -v[25:26], 1.0
	v_fma_f64 v[21:22], v[17:18], v[21:22], s[6:7]
	s_mov_b32 s6, 0x16c16967
	s_mov_b32 s7, 0xbf56c16c
	v_fma_f64 v[19:20], v[17:18], v[19:20], s[8:9]
	v_add_f64 v[23:24], v[31:32], -v[23:24]
	v_fma_f64 v[21:22], v[17:18], v[21:22], s[6:7]
	s_mov_b32 s7, 0x3fa55555
	s_mov_b32 s6, 0x55555555
	v_fma_f64 v[19:20], v[29:30], v[19:20], v[27:28]
	v_mul_f64 v[27:28], v[17:18], v[17:18]
	v_fma_f64 v[23:24], v[6:7], -v[14:15], v[23:24]
	v_fma_f64 v[21:22], v[17:18], v[21:22], s[6:7]
	s_mov_b32 s7, 0xbfc55555
	v_fma_f64 v[14:15], v[17:18], v[19:20], -v[14:15]
	v_fma_f64 v[17:18], v[27:28], v[21:22], v[23:24]
	v_fma_f64 v[14:15], v[29:30], s[6:7], v[14:15]
	v_add_f64 v[17:18], v[25:26], v[17:18]
	v_add_f64 v[6:7], v[6:7], -v[14:15]
	v_and_b32_e32 v14, 1, v16
	v_cmp_eq_u32_e32 vcc_lo, 0, v14
	v_lshlrev_b32_e32 v14, 30, v16
	v_xor_b32_e32 v14, v14, v5
	v_and_b32_e32 v14, 0x80000000, v14
	v_cndmask_b32_e32 v7, v18, v7, vcc_lo
	v_cndmask_b32_e32 v6, v17, v6, vcc_lo
	v_xor_b32_e32 v7, v7, v14
	v_cndmask_b32_e64 v6, 0, v6, s0
	v_cndmask_b32_e64 v7, 0x7ff80000, v7, s0
	v_div_scale_f64 v[14:15], null, v[4:5], v[4:5], v[6:7]
	v_rcp_f64_e32 v[16:17], v[14:15]
	v_fma_f64 v[18:19], -v[14:15], v[16:17], 1.0
	v_fma_f64 v[16:17], v[16:17], v[18:19], v[16:17]
	v_fma_f64 v[18:19], -v[14:15], v[16:17], 1.0
	v_fma_f64 v[16:17], v[16:17], v[18:19], v[16:17]
	v_div_scale_f64 v[18:19], vcc_lo, v[6:7], v[4:5], v[6:7]
	v_mul_f64 v[20:21], v[18:19], v[16:17]
	v_fma_f64 v[14:15], -v[14:15], v[20:21], v[18:19]
	v_div_fmas_f64 v[14:15], v[14:15], v[16:17], v[20:21]
	v_div_fixup_f64 v[6:7], v[14:15], v[4:5], v[6:7]
                                        ; implicit-def: $vgpr4_vgpr5
.LBB5_109:
	s_andn2_saveexec_b32 s0, s2
	s_cbranch_execz .LBB5_111
; %bb.110:
	v_mul_f64 v[4:5], v[4:5], v[4:5]
	s_mov_b32 s2, 0x67f544e4
	s_mov_b32 s6, 0x13a86d09
	;; [unrolled: 1-line block ×4, first 2 shown]
	v_fma_f64 v[6:7], v[4:5], s[6:7], s[2:3]
	s_mov_b32 s2, 0xa556c734
	s_mov_b32 s3, 0x3ec71de3
	v_fma_f64 v[6:7], v[4:5], v[6:7], s[2:3]
	s_mov_b32 s2, 0x1a01a01a
	s_mov_b32 s3, 0xbf2a01a0
	;; [unrolled: 3-line block ×4, first 2 shown]
	v_fma_f64 v[6:7], v[4:5], v[6:7], s[2:3]
	v_fma_f64 v[6:7], v[4:5], v[6:7], 1.0
.LBB5_111:
	s_or_b32 exec_lo, exec_lo, s0
.LBB5_112:
	s_or_b32 exec_lo, exec_lo, s1
	global_store_dwordx2 v0, v[10:11], s[4:5]
	global_store_dwordx2 v1, v[8:9], s[4:5]
	;; [unrolled: 1-line block ×4, first 2 shown]
	s_endpgm
.LBB5_113:
	v_mov_b32_e32 v0, 0
	v_mov_b32_e32 v2, 0
	s_branch .LBB5_119
.LBB5_114:
	v_mov_b32_e32 v0, 0
	v_mov_b32_e32 v2, 0
	s_branch .LBB5_145
.LBB5_115:
	v_mov_b32_e32 v0, 0
	v_mov_b32_e32 v2, 0
	;; [unrolled: 1-line block ×3, first 2 shown]
	s_mov_b32 s31, 0
.LBB5_116:
	s_and_b32 s33, s33, 3
	s_cmp_eq_u32 s33, 0
	s_cbranch_scc1 .LBB5_119
; %bb.117:
	s_lshl_b32 s0, s31, 3
	s_mul_i32 s20, s31, 12
	s_add_u32 s0, s2, s0
	s_addc_u32 s1, s3, 0
	s_add_u32 s0, s0, 0xc4
	s_addc_u32 s1, s1, 0
	s_add_u32 s20, s2, s20
	s_addc_u32 s21, s3, 0
	.p2align	6
.LBB5_118:                              ; =>This Inner Loop Header: Depth=1
	s_clause 0x1
	s_load_dwordx2 s[34:35], s[20:21], 0x4
	s_load_dword s31, s[20:21], 0xc
	s_load_dwordx2 s[36:37], s[0:1], 0x0
	s_add_u32 s20, s20, 12
	s_addc_u32 s21, s21, 0
	s_add_u32 s0, s0, 8
	s_addc_u32 s1, s1, 0
	s_add_i32 s33, s33, -1
	s_cmp_lg_u32 s33, 0
	s_waitcnt lgkmcnt(0)
	v_mul_hi_u32 v3, s35, v1
	v_add_nc_u32_e32 v3, v1, v3
	v_lshrrev_b32_e32 v4, s31, v3
	v_mul_lo_u32 v3, v4, s34
	v_sub_nc_u32_e32 v3, v1, v3
	v_mad_u64_u32 v[0:1], null, v3, s36, v[0:1]
	v_mad_u64_u32 v[2:3], null, v3, s37, v[2:3]
	v_mov_b32_e32 v1, v4
	s_cbranch_scc1 .LBB5_118
.LBB5_119:
	s_cbranch_execnz .LBB5_122
.LBB5_120:
	s_waitcnt lgkmcnt(0)
	v_mul_hi_u32 v0, s13, v7
	s_andn2_b32 vcc_lo, exec_lo, s26
	v_add_nc_u32_e32 v0, v7, v0
	v_lshrrev_b32_e32 v1, s14, v0
	v_mul_lo_u32 v0, v1, s12
	v_sub_nc_u32_e32 v2, v7, v0
	v_mul_lo_u32 v0, v2, s8
	v_mul_lo_u32 v2, v2, s9
	s_cbranch_vccnz .LBB5_122
; %bb.121:
	v_mul_hi_u32 v3, s16, v1
	v_add_nc_u32_e32 v3, v1, v3
	v_lshrrev_b32_e32 v3, s17, v3
	v_mul_lo_u32 v3, v3, s15
	v_sub_nc_u32_e32 v3, v1, v3
	v_mad_u64_u32 v[0:1], null, v3, s10, v[0:1]
	v_mad_u64_u32 v[2:3], null, v3, s11, v[2:3]
.LBB5_122:
	s_waitcnt lgkmcnt(0)
	global_load_dwordx2 v[1:2], v2, s[6:7]
	v_mov_b32_e32 v3, 0
	v_mov_b32_e32 v4, 0
	s_mov_b32 s1, exec_lo
	s_waitcnt vmcnt(0)
	v_cmpx_neq_f64_e64 0x7ff00000, |v[1:2]|
	s_cbranch_execz .LBB5_132
; %bb.123:
	s_mov_b32 s20, exec_lo
                                        ; implicit-def: $vgpr3_vgpr4
	v_cmpx_nlt_f64_e64 |v[1:2]|, 0.5
	s_xor_b32 s20, exec_lo, s20
	s_cbranch_execz .LBB5_129
; %bb.124:
	v_cmp_ngt_f64_e64 s0, 0x41d00000, |v[1:2]|
                                        ; implicit-def: $vgpr8
                                        ; implicit-def: $vgpr3_vgpr4
                                        ; implicit-def: $vgpr5_vgpr6
	s_and_saveexec_b32 s21, s0
	s_xor_b32 s0, exec_lo, s21
	s_cbranch_execz .LBB5_126
; %bb.125:
	v_ldexp_f64 v[3:4], |v[1:2]|, 0xffffff80
	v_cmp_le_f64_e64 vcc_lo, 0x7b000000, |v[1:2]|
	v_trig_preop_f64 v[5:6], |v[1:2]|, 0
	v_and_b32_e32 v8, 0x7fffffff, v2
	v_trig_preop_f64 v[18:19], |v[1:2]|, 2
	v_mov_b32_e32 v26, 0
	s_mov_b32 s34, 0x54442d18
	s_mov_b32 s35, 0x3ff921fb
	;; [unrolled: 1-line block ×4, first 2 shown]
	v_cndmask_b32_e32 v4, v8, v4, vcc_lo
	v_cndmask_b32_e32 v3, v1, v3, vcc_lo
	v_trig_preop_f64 v[8:9], |v[1:2]|, 1
	v_mul_f64 v[10:11], v[5:6], v[3:4]
	v_mul_f64 v[24:25], v[18:19], v[3:4]
	;; [unrolled: 1-line block ×3, first 2 shown]
	v_fma_f64 v[5:6], v[5:6], v[3:4], -v[10:11]
	v_fma_f64 v[8:9], v[8:9], v[3:4], -v[12:13]
	;; [unrolled: 1-line block ×3, first 2 shown]
	v_add_f64 v[14:15], v[12:13], v[5:6]
	v_add_f64 v[16:17], v[14:15], -v[12:13]
	v_add_f64 v[22:23], v[10:11], v[14:15]
	v_add_f64 v[20:21], v[14:15], -v[16:17]
	v_add_f64 v[5:6], v[5:6], -v[16:17]
	v_ldexp_f64 v[16:17], v[22:23], -2
	v_add_f64 v[10:11], v[22:23], -v[10:11]
	v_add_f64 v[12:13], v[12:13], -v[20:21]
	v_add_f64 v[20:21], v[24:25], v[8:9]
	v_cmp_neq_f64_e64 vcc_lo, 0x7ff00000, |v[16:17]|
	v_add_f64 v[10:11], v[14:15], -v[10:11]
	v_add_f64 v[5:6], v[5:6], v[12:13]
	v_fract_f64_e32 v[12:13], v[16:17]
	v_add_f64 v[14:15], v[20:21], v[5:6]
	v_ldexp_f64 v[12:13], v[12:13], 2
	v_add_f64 v[16:17], v[10:11], v[14:15]
	v_cndmask_b32_e32 v13, 0, v13, vcc_lo
	v_cndmask_b32_e32 v12, 0, v12, vcc_lo
	v_add_f64 v[22:23], v[16:17], v[12:13]
	v_add_f64 v[10:11], v[16:17], -v[10:11]
	v_cmp_gt_f64_e32 vcc_lo, 0, v[22:23]
	v_add_f64 v[22:23], v[20:21], -v[24:25]
	v_cndmask_b32_e64 v27, 0, 0x40100000, vcc_lo
	v_add_f64 v[31:32], v[20:21], -v[22:23]
	v_add_f64 v[8:9], v[8:9], -v[22:23]
	v_add_f64 v[12:13], v[12:13], v[26:27]
	v_add_f64 v[27:28], v[14:15], -v[20:21]
	v_add_f64 v[22:23], v[24:25], -v[31:32]
	v_add_f64 v[29:30], v[16:17], v[12:13]
	;; [unrolled: 3-line block ×3, first 2 shown]
	v_cvt_i32_f64_e32 v29, v[29:30]
	v_add_f64 v[20:21], v[20:21], -v[33:34]
	v_cvt_f64_i32_e32 v[27:28], v29
	v_add_f64 v[5:6], v[5:6], v[20:21]
	v_add_f64 v[12:13], v[12:13], -v[27:28]
	v_add_f64 v[5:6], v[8:9], v[5:6]
	v_add_f64 v[8:9], v[14:15], -v[10:11]
	v_add_f64 v[18:19], v[16:17], v[12:13]
	v_add_f64 v[3:4], v[3:4], v[5:6]
	v_add_f64 v[5:6], v[18:19], -v[12:13]
	v_cmp_le_f64_e32 vcc_lo, 0.5, v[18:19]
	v_add_f64 v[3:4], v[8:9], v[3:4]
	v_add_f64 v[5:6], v[16:17], -v[5:6]
	v_cndmask_b32_e64 v27, 0, 0x3ff00000, vcc_lo
	v_add_co_ci_u32_e64 v8, null, 0, v29, vcc_lo
	v_add_f64 v[3:4], v[3:4], v[5:6]
	v_add_f64 v[5:6], v[18:19], -v[26:27]
	v_add_f64 v[9:10], v[5:6], v[3:4]
	v_mul_f64 v[11:12], v[9:10], s[34:35]
	v_add_f64 v[5:6], v[9:10], -v[5:6]
	v_fma_f64 v[13:14], v[9:10], s[34:35], -v[11:12]
	v_add_f64 v[3:4], v[3:4], -v[5:6]
	v_fma_f64 v[5:6], v[9:10], s[36:37], v[13:14]
	v_fma_f64 v[5:6], v[3:4], s[34:35], v[5:6]
	v_add_f64 v[3:4], v[11:12], v[5:6]
	v_add_f64 v[9:10], v[3:4], -v[11:12]
	v_add_f64 v[5:6], v[5:6], -v[9:10]
.LBB5_126:
	s_andn2_saveexec_b32 s0, s0
	s_cbranch_execz .LBB5_128
; %bb.127:
	s_mov_b32 s34, 0x6dc9c883
	s_mov_b32 s35, 0x3fe45f30
	;; [unrolled: 1-line block ×3, first 2 shown]
	v_mul_f64 v[3:4], |v[1:2]|, s[34:35]
	s_mov_b32 s34, 0x54442d18
	s_mov_b32 s35, 0xbff921fb
	;; [unrolled: 1-line block ×3, first 2 shown]
	v_rndne_f64_e32 v[8:9], v[3:4]
	v_fma_f64 v[3:4], v[8:9], s[34:35], |v[1:2]|
	v_mul_f64 v[5:6], v[8:9], s[36:37]
	s_mov_b32 s34, 0x252049c0
	s_mov_b32 s35, 0xb97b839a
	v_fma_f64 v[12:13], v[8:9], s[36:37], v[3:4]
	v_add_f64 v[10:11], v[3:4], v[5:6]
	s_mov_b32 s37, 0x3c91a626
	v_add_f64 v[3:4], v[3:4], -v[10:11]
	v_add_f64 v[10:11], v[10:11], -v[12:13]
	v_add_f64 v[3:4], v[3:4], v[5:6]
	v_fma_f64 v[5:6], v[8:9], s[36:37], v[5:6]
	v_add_f64 v[3:4], v[10:11], v[3:4]
	v_add_f64 v[3:4], v[3:4], -v[5:6]
	v_fma_f64 v[5:6], v[8:9], s[34:35], v[3:4]
	v_cvt_i32_f64_e32 v8, v[8:9]
	v_add_f64 v[3:4], v[12:13], v[5:6]
	v_add_f64 v[10:11], v[3:4], -v[12:13]
	v_add_f64 v[5:6], v[5:6], -v[10:11]
.LBB5_128:
	s_or_b32 exec_lo, exec_lo, s0
	v_mul_f64 v[9:10], v[3:4], v[3:4]
	s_mov_b32 s34, 0xb42fdfa7
	s_mov_b32 s36, 0xf9a43bb8
	;; [unrolled: 1-line block ×6, first 2 shown]
	v_mul_f64 v[19:20], v[5:6], 0.5
	v_cmp_class_f64_e64 s0, v[1:2], 0x1f8
	v_fma_f64 v[11:12], v[9:10], s[36:37], s[34:35]
	s_mov_b32 s34, 0x9037ab78
	s_mov_b32 s36, 0x46cc5e42
	s_mov_b32 s35, 0x3e21eeb6
	s_mov_b32 s37, 0xbda907db
	v_mul_f64 v[15:16], v[9:10], 0.5
	v_fma_f64 v[13:14], v[9:10], s[36:37], s[34:35]
	s_mov_b32 s34, 0xa17f65f6
	s_mov_b32 s36, 0x19e83e5c
	;; [unrolled: 1-line block ×4, first 2 shown]
	v_mul_f64 v[21:22], v[3:4], -v[9:10]
	v_fma_f64 v[11:12], v[9:10], v[11:12], s[38:39]
	v_add_f64 v[17:18], -v[15:16], 1.0
	v_fma_f64 v[13:14], v[9:10], v[13:14], s[34:35]
	s_mov_b32 s34, 0x19f4ec90
	s_mov_b32 s35, 0x3efa01a0
	v_fma_f64 v[11:12], v[9:10], v[11:12], s[36:37]
	s_mov_b32 s36, 0x11110bb3
	s_mov_b32 s37, 0x3f811111
	v_add_f64 v[23:24], -v[17:18], 1.0
	v_fma_f64 v[13:14], v[9:10], v[13:14], s[34:35]
	s_mov_b32 s34, 0x16c16967
	s_mov_b32 s35, 0xbf56c16c
	v_fma_f64 v[11:12], v[9:10], v[11:12], s[36:37]
	v_add_f64 v[15:16], v[23:24], -v[15:16]
	v_fma_f64 v[13:14], v[9:10], v[13:14], s[34:35]
	s_mov_b32 s35, 0x3fa55555
	s_mov_b32 s34, 0x55555555
	v_fma_f64 v[11:12], v[21:22], v[11:12], v[19:20]
	v_mul_f64 v[19:20], v[9:10], v[9:10]
	v_fma_f64 v[15:16], v[3:4], -v[5:6], v[15:16]
	v_fma_f64 v[13:14], v[9:10], v[13:14], s[34:35]
	s_mov_b32 s35, 0xbfc55555
	v_fma_f64 v[5:6], v[9:10], v[11:12], -v[5:6]
	v_fma_f64 v[9:10], v[19:20], v[13:14], v[15:16]
	v_fma_f64 v[5:6], v[21:22], s[34:35], v[5:6]
	v_add_f64 v[9:10], v[17:18], v[9:10]
	v_add_f64 v[3:4], v[3:4], -v[5:6]
	v_and_b32_e32 v5, 1, v8
	v_cmp_eq_u32_e32 vcc_lo, 0, v5
	v_lshlrev_b32_e32 v5, 30, v8
	v_xor_b32_e32 v5, v5, v2
	v_and_b32_e32 v5, 0x80000000, v5
	v_cndmask_b32_e32 v4, v10, v4, vcc_lo
	v_cndmask_b32_e32 v3, v9, v3, vcc_lo
	v_xor_b32_e32 v4, v4, v5
	v_cndmask_b32_e64 v3, 0, v3, s0
	v_cndmask_b32_e64 v4, 0x7ff80000, v4, s0
	v_div_scale_f64 v[5:6], null, v[1:2], v[1:2], v[3:4]
	v_rcp_f64_e32 v[8:9], v[5:6]
	v_fma_f64 v[10:11], -v[5:6], v[8:9], 1.0
	v_fma_f64 v[8:9], v[8:9], v[10:11], v[8:9]
	v_fma_f64 v[10:11], -v[5:6], v[8:9], 1.0
	v_fma_f64 v[8:9], v[8:9], v[10:11], v[8:9]
	v_div_scale_f64 v[10:11], vcc_lo, v[3:4], v[1:2], v[3:4]
	v_mul_f64 v[12:13], v[10:11], v[8:9]
	v_fma_f64 v[5:6], -v[5:6], v[12:13], v[10:11]
	v_div_fmas_f64 v[5:6], v[5:6], v[8:9], v[12:13]
	v_div_fixup_f64 v[3:4], v[5:6], v[1:2], v[3:4]
                                        ; implicit-def: $vgpr1_vgpr2
.LBB5_129:
	s_andn2_saveexec_b32 s0, s20
	s_cbranch_execz .LBB5_131
; %bb.130:
	v_mul_f64 v[1:2], v[1:2], v[1:2]
	s_mov_b32 s20, 0x67f544e4
	s_mov_b32 s34, 0x13a86d09
	s_mov_b32 s21, 0xbe5ae645
	s_mov_b32 s35, 0x3de61246
	v_fma_f64 v[3:4], v[1:2], s[34:35], s[20:21]
	s_mov_b32 s20, 0xa556c734
	s_mov_b32 s21, 0x3ec71de3
	v_fma_f64 v[3:4], v[1:2], v[3:4], s[20:21]
	s_mov_b32 s20, 0x1a01a01a
	s_mov_b32 s21, 0xbf2a01a0
	;; [unrolled: 3-line block ×4, first 2 shown]
	v_fma_f64 v[3:4], v[1:2], v[3:4], s[20:21]
	v_fma_f64 v[3:4], v[1:2], v[3:4], 1.0
.LBB5_131:
	s_or_b32 exec_lo, exec_lo, s0
.LBB5_132:
	s_or_b32 exec_lo, exec_lo, s1
	v_add_nc_u32_e32 v7, 0x80, v7
	global_store_dwordx2 v0, v[3:4], s[4:5]
	s_or_b32 exec_lo, exec_lo, s30
	s_mov_b32 s30, exec_lo
	v_cmpx_gt_i32_e64 s27, v7
	s_cbranch_execnz .LBB5_15
.LBB5_133:
	s_or_b32 exec_lo, exec_lo, s30
	s_mov_b32 s30, exec_lo
	v_cmpx_gt_i32_e64 s27, v7
	s_cbranch_execz .LBB5_159
.LBB5_134:
	s_andn2_b32 vcc_lo, exec_lo, s24
	s_cbranch_vccnz .LBB5_139
; %bb.135:
	s_andn2_b32 vcc_lo, exec_lo, s29
	s_cbranch_vccnz .LBB5_140
; %bb.136:
	s_add_i32 s33, s28, 1
	s_cmp_eq_u32 s23, 2
	s_cbranch_scc1 .LBB5_162
; %bb.137:
	v_mov_b32_e32 v2, 0
	v_mov_b32_e32 v0, 0
	;; [unrolled: 1-line block ×3, first 2 shown]
	s_and_b32 s31, s33, 28
	s_mov_b32 s34, 0
	s_mov_b64 s[0:1], s[2:3]
	s_mov_b64 s[20:21], s[18:19]
.LBB5_138:                              ; =>This Inner Loop Header: Depth=1
	s_clause 0x1
	s_load_dwordx8 s[36:43], s[0:1], 0x4
	s_load_dwordx4 s[52:55], s[0:1], 0x24
	s_load_dwordx8 s[44:51], s[20:21], 0x0
	s_add_u32 s0, s0, 48
	s_addc_u32 s1, s1, 0
	s_add_i32 s34, s34, 4
	s_add_u32 s20, s20, 32
	s_addc_u32 s21, s21, 0
	s_cmp_eq_u32 s31, s34
	s_waitcnt lgkmcnt(0)
	v_mul_hi_u32 v3, s37, v1
	v_add_nc_u32_e32 v3, v1, v3
	v_lshrrev_b32_e32 v3, s38, v3
	v_mul_hi_u32 v4, s40, v3
	v_mul_lo_u32 v6, v3, s36
	v_add_nc_u32_e32 v4, v3, v4
	v_sub_nc_u32_e32 v1, v1, v6
	v_lshrrev_b32_e32 v4, s41, v4
	v_mul_lo_u32 v6, v1, s44
	v_mul_lo_u32 v9, v1, s45
	v_mul_hi_u32 v5, s43, v4
	v_add_nc_u32_e32 v5, v4, v5
	v_lshrrev_b32_e32 v5, s52, v5
	v_mul_hi_u32 v8, s54, v5
	v_mul_lo_u32 v10, v5, s42
	v_add_nc_u32_e32 v1, v5, v8
	v_mul_lo_u32 v8, v4, s39
	v_sub_nc_u32_e32 v4, v4, v10
	v_lshrrev_b32_e32 v1, s55, v1
	v_mul_lo_u32 v10, v4, s48
	v_mul_lo_u32 v4, v4, s49
	v_sub_nc_u32_e32 v3, v3, v8
	v_mul_lo_u32 v11, v1, s53
	v_mul_lo_u32 v8, v3, s46
	;; [unrolled: 1-line block ×3, first 2 shown]
	v_sub_nc_u32_e32 v5, v5, v11
	v_add3_u32 v0, v6, v0, v8
	v_mul_lo_u32 v11, v5, s50
	v_mul_lo_u32 v5, v5, s51
	v_add3_u32 v2, v9, v2, v3
	v_add3_u32 v0, v10, v0, v11
	;; [unrolled: 1-line block ×3, first 2 shown]
	s_cbranch_scc0 .LBB5_138
	s_branch .LBB5_163
.LBB5_139:
                                        ; implicit-def: $vgpr0
                                        ; implicit-def: $vgpr2
	s_branch .LBB5_167
.LBB5_140:
	v_mov_b32_e32 v0, 0
	v_mov_b32_e32 v2, 0
	s_branch .LBB5_166
.LBB5_141:
	v_mov_b32_e32 v0, 0
	v_mov_b32_e32 v2, 0
	;; [unrolled: 1-line block ×3, first 2 shown]
	s_mov_b32 s31, 0
.LBB5_142:
	s_and_b32 s33, s33, 3
	s_cmp_eq_u32 s33, 0
	s_cbranch_scc1 .LBB5_145
; %bb.143:
	s_lshl_b32 s0, s31, 3
	s_mul_i32 s20, s31, 12
	s_add_u32 s0, s2, s0
	s_addc_u32 s1, s3, 0
	s_add_u32 s0, s0, 0xc4
	s_addc_u32 s1, s1, 0
	;; [unrolled: 2-line block ×3, first 2 shown]
	.p2align	6
.LBB5_144:                              ; =>This Inner Loop Header: Depth=1
	s_clause 0x1
	s_load_dwordx2 s[34:35], s[20:21], 0x4
	s_load_dword s31, s[20:21], 0xc
	s_load_dwordx2 s[36:37], s[0:1], 0x0
	s_add_u32 s20, s20, 12
	s_addc_u32 s21, s21, 0
	s_add_u32 s0, s0, 8
	s_addc_u32 s1, s1, 0
	s_add_i32 s33, s33, -1
	s_cmp_lg_u32 s33, 0
	s_waitcnt lgkmcnt(0)
	v_mul_hi_u32 v3, s35, v1
	v_add_nc_u32_e32 v3, v1, v3
	v_lshrrev_b32_e32 v4, s31, v3
	v_mul_lo_u32 v3, v4, s34
	v_sub_nc_u32_e32 v3, v1, v3
	v_mad_u64_u32 v[0:1], null, v3, s36, v[0:1]
	v_mad_u64_u32 v[2:3], null, v3, s37, v[2:3]
	v_mov_b32_e32 v1, v4
	s_cbranch_scc1 .LBB5_144
.LBB5_145:
	s_cbranch_execnz .LBB5_148
.LBB5_146:
	s_waitcnt lgkmcnt(0)
	v_mul_hi_u32 v0, s13, v7
	s_andn2_b32 vcc_lo, exec_lo, s26
	v_add_nc_u32_e32 v0, v7, v0
	v_lshrrev_b32_e32 v1, s14, v0
	v_mul_lo_u32 v0, v1, s12
	v_sub_nc_u32_e32 v2, v7, v0
	v_mul_lo_u32 v0, v2, s8
	v_mul_lo_u32 v2, v2, s9
	s_cbranch_vccnz .LBB5_148
; %bb.147:
	v_mul_hi_u32 v3, s16, v1
	v_add_nc_u32_e32 v3, v1, v3
	v_lshrrev_b32_e32 v3, s17, v3
	v_mul_lo_u32 v3, v3, s15
	v_sub_nc_u32_e32 v3, v1, v3
	v_mad_u64_u32 v[0:1], null, v3, s10, v[0:1]
	v_mad_u64_u32 v[2:3], null, v3, s11, v[2:3]
.LBB5_148:
	s_waitcnt lgkmcnt(0)
	global_load_dwordx2 v[1:2], v2, s[6:7]
	v_mov_b32_e32 v3, 0
	v_mov_b32_e32 v4, 0
	s_mov_b32 s1, exec_lo
	s_waitcnt vmcnt(0)
	v_cmpx_neq_f64_e64 0x7ff00000, |v[1:2]|
	s_cbranch_execz .LBB5_158
; %bb.149:
	s_mov_b32 s20, exec_lo
                                        ; implicit-def: $vgpr3_vgpr4
	v_cmpx_nlt_f64_e64 |v[1:2]|, 0.5
	s_xor_b32 s20, exec_lo, s20
	s_cbranch_execz .LBB5_155
; %bb.150:
	v_cmp_ngt_f64_e64 s0, 0x41d00000, |v[1:2]|
                                        ; implicit-def: $vgpr8
                                        ; implicit-def: $vgpr3_vgpr4
                                        ; implicit-def: $vgpr5_vgpr6
	s_and_saveexec_b32 s21, s0
	s_xor_b32 s0, exec_lo, s21
	s_cbranch_execz .LBB5_152
; %bb.151:
	v_ldexp_f64 v[3:4], |v[1:2]|, 0xffffff80
	v_cmp_le_f64_e64 vcc_lo, 0x7b000000, |v[1:2]|
	v_trig_preop_f64 v[5:6], |v[1:2]|, 0
	v_and_b32_e32 v8, 0x7fffffff, v2
	v_trig_preop_f64 v[18:19], |v[1:2]|, 2
	v_mov_b32_e32 v26, 0
	s_mov_b32 s34, 0x54442d18
	s_mov_b32 s35, 0x3ff921fb
	;; [unrolled: 1-line block ×4, first 2 shown]
	v_cndmask_b32_e32 v4, v8, v4, vcc_lo
	v_cndmask_b32_e32 v3, v1, v3, vcc_lo
	v_trig_preop_f64 v[8:9], |v[1:2]|, 1
	v_mul_f64 v[10:11], v[5:6], v[3:4]
	v_mul_f64 v[24:25], v[18:19], v[3:4]
	;; [unrolled: 1-line block ×3, first 2 shown]
	v_fma_f64 v[5:6], v[5:6], v[3:4], -v[10:11]
	v_fma_f64 v[8:9], v[8:9], v[3:4], -v[12:13]
	;; [unrolled: 1-line block ×3, first 2 shown]
	v_add_f64 v[14:15], v[12:13], v[5:6]
	v_add_f64 v[16:17], v[14:15], -v[12:13]
	v_add_f64 v[22:23], v[10:11], v[14:15]
	v_add_f64 v[20:21], v[14:15], -v[16:17]
	v_add_f64 v[5:6], v[5:6], -v[16:17]
	v_ldexp_f64 v[16:17], v[22:23], -2
	v_add_f64 v[10:11], v[22:23], -v[10:11]
	v_add_f64 v[12:13], v[12:13], -v[20:21]
	v_add_f64 v[20:21], v[24:25], v[8:9]
	v_cmp_neq_f64_e64 vcc_lo, 0x7ff00000, |v[16:17]|
	v_add_f64 v[10:11], v[14:15], -v[10:11]
	v_add_f64 v[5:6], v[5:6], v[12:13]
	v_fract_f64_e32 v[12:13], v[16:17]
	v_add_f64 v[14:15], v[20:21], v[5:6]
	v_ldexp_f64 v[12:13], v[12:13], 2
	v_add_f64 v[16:17], v[10:11], v[14:15]
	v_cndmask_b32_e32 v13, 0, v13, vcc_lo
	v_cndmask_b32_e32 v12, 0, v12, vcc_lo
	v_add_f64 v[22:23], v[16:17], v[12:13]
	v_add_f64 v[10:11], v[16:17], -v[10:11]
	v_cmp_gt_f64_e32 vcc_lo, 0, v[22:23]
	v_add_f64 v[22:23], v[20:21], -v[24:25]
	v_cndmask_b32_e64 v27, 0, 0x40100000, vcc_lo
	v_add_f64 v[31:32], v[20:21], -v[22:23]
	v_add_f64 v[8:9], v[8:9], -v[22:23]
	v_add_f64 v[12:13], v[12:13], v[26:27]
	v_add_f64 v[27:28], v[14:15], -v[20:21]
	v_add_f64 v[22:23], v[24:25], -v[31:32]
	v_add_f64 v[29:30], v[16:17], v[12:13]
	;; [unrolled: 3-line block ×3, first 2 shown]
	v_cvt_i32_f64_e32 v29, v[29:30]
	v_add_f64 v[20:21], v[20:21], -v[33:34]
	v_cvt_f64_i32_e32 v[27:28], v29
	v_add_f64 v[5:6], v[5:6], v[20:21]
	v_add_f64 v[12:13], v[12:13], -v[27:28]
	v_add_f64 v[5:6], v[8:9], v[5:6]
	v_add_f64 v[8:9], v[14:15], -v[10:11]
	v_add_f64 v[18:19], v[16:17], v[12:13]
	v_add_f64 v[3:4], v[3:4], v[5:6]
	v_add_f64 v[5:6], v[18:19], -v[12:13]
	v_cmp_le_f64_e32 vcc_lo, 0.5, v[18:19]
	v_add_f64 v[3:4], v[8:9], v[3:4]
	v_add_f64 v[5:6], v[16:17], -v[5:6]
	v_cndmask_b32_e64 v27, 0, 0x3ff00000, vcc_lo
	v_add_co_ci_u32_e64 v8, null, 0, v29, vcc_lo
	v_add_f64 v[3:4], v[3:4], v[5:6]
	v_add_f64 v[5:6], v[18:19], -v[26:27]
	v_add_f64 v[9:10], v[5:6], v[3:4]
	v_mul_f64 v[11:12], v[9:10], s[34:35]
	v_add_f64 v[5:6], v[9:10], -v[5:6]
	v_fma_f64 v[13:14], v[9:10], s[34:35], -v[11:12]
	v_add_f64 v[3:4], v[3:4], -v[5:6]
	v_fma_f64 v[5:6], v[9:10], s[36:37], v[13:14]
	v_fma_f64 v[5:6], v[3:4], s[34:35], v[5:6]
	v_add_f64 v[3:4], v[11:12], v[5:6]
	v_add_f64 v[9:10], v[3:4], -v[11:12]
	v_add_f64 v[5:6], v[5:6], -v[9:10]
.LBB5_152:
	s_andn2_saveexec_b32 s0, s0
	s_cbranch_execz .LBB5_154
; %bb.153:
	s_mov_b32 s34, 0x6dc9c883
	s_mov_b32 s35, 0x3fe45f30
	;; [unrolled: 1-line block ×3, first 2 shown]
	v_mul_f64 v[3:4], |v[1:2]|, s[34:35]
	s_mov_b32 s34, 0x54442d18
	s_mov_b32 s35, 0xbff921fb
	;; [unrolled: 1-line block ×3, first 2 shown]
	v_rndne_f64_e32 v[8:9], v[3:4]
	v_fma_f64 v[3:4], v[8:9], s[34:35], |v[1:2]|
	v_mul_f64 v[5:6], v[8:9], s[36:37]
	s_mov_b32 s34, 0x252049c0
	s_mov_b32 s35, 0xb97b839a
	v_fma_f64 v[12:13], v[8:9], s[36:37], v[3:4]
	v_add_f64 v[10:11], v[3:4], v[5:6]
	s_mov_b32 s37, 0x3c91a626
	v_add_f64 v[3:4], v[3:4], -v[10:11]
	v_add_f64 v[10:11], v[10:11], -v[12:13]
	v_add_f64 v[3:4], v[3:4], v[5:6]
	v_fma_f64 v[5:6], v[8:9], s[36:37], v[5:6]
	v_add_f64 v[3:4], v[10:11], v[3:4]
	v_add_f64 v[3:4], v[3:4], -v[5:6]
	v_fma_f64 v[5:6], v[8:9], s[34:35], v[3:4]
	v_cvt_i32_f64_e32 v8, v[8:9]
	v_add_f64 v[3:4], v[12:13], v[5:6]
	v_add_f64 v[10:11], v[3:4], -v[12:13]
	v_add_f64 v[5:6], v[5:6], -v[10:11]
.LBB5_154:
	s_or_b32 exec_lo, exec_lo, s0
	v_mul_f64 v[9:10], v[3:4], v[3:4]
	s_mov_b32 s34, 0xb42fdfa7
	s_mov_b32 s36, 0xf9a43bb8
	;; [unrolled: 1-line block ×6, first 2 shown]
	v_mul_f64 v[19:20], v[5:6], 0.5
	v_cmp_class_f64_e64 s0, v[1:2], 0x1f8
	v_fma_f64 v[11:12], v[9:10], s[36:37], s[34:35]
	s_mov_b32 s34, 0x9037ab78
	s_mov_b32 s36, 0x46cc5e42
	;; [unrolled: 1-line block ×4, first 2 shown]
	v_mul_f64 v[15:16], v[9:10], 0.5
	v_fma_f64 v[13:14], v[9:10], s[36:37], s[34:35]
	s_mov_b32 s34, 0xa17f65f6
	s_mov_b32 s36, 0x19e83e5c
	;; [unrolled: 1-line block ×4, first 2 shown]
	v_mul_f64 v[21:22], v[3:4], -v[9:10]
	v_fma_f64 v[11:12], v[9:10], v[11:12], s[38:39]
	v_add_f64 v[17:18], -v[15:16], 1.0
	v_fma_f64 v[13:14], v[9:10], v[13:14], s[34:35]
	s_mov_b32 s34, 0x19f4ec90
	s_mov_b32 s35, 0x3efa01a0
	v_fma_f64 v[11:12], v[9:10], v[11:12], s[36:37]
	s_mov_b32 s36, 0x11110bb3
	s_mov_b32 s37, 0x3f811111
	v_add_f64 v[23:24], -v[17:18], 1.0
	v_fma_f64 v[13:14], v[9:10], v[13:14], s[34:35]
	s_mov_b32 s34, 0x16c16967
	s_mov_b32 s35, 0xbf56c16c
	v_fma_f64 v[11:12], v[9:10], v[11:12], s[36:37]
	v_add_f64 v[15:16], v[23:24], -v[15:16]
	v_fma_f64 v[13:14], v[9:10], v[13:14], s[34:35]
	s_mov_b32 s35, 0x3fa55555
	s_mov_b32 s34, 0x55555555
	v_fma_f64 v[11:12], v[21:22], v[11:12], v[19:20]
	v_mul_f64 v[19:20], v[9:10], v[9:10]
	v_fma_f64 v[15:16], v[3:4], -v[5:6], v[15:16]
	v_fma_f64 v[13:14], v[9:10], v[13:14], s[34:35]
	s_mov_b32 s35, 0xbfc55555
	v_fma_f64 v[5:6], v[9:10], v[11:12], -v[5:6]
	v_fma_f64 v[9:10], v[19:20], v[13:14], v[15:16]
	v_fma_f64 v[5:6], v[21:22], s[34:35], v[5:6]
	v_add_f64 v[9:10], v[17:18], v[9:10]
	v_add_f64 v[3:4], v[3:4], -v[5:6]
	v_and_b32_e32 v5, 1, v8
	v_cmp_eq_u32_e32 vcc_lo, 0, v5
	v_lshlrev_b32_e32 v5, 30, v8
	v_xor_b32_e32 v5, v5, v2
	v_and_b32_e32 v5, 0x80000000, v5
	v_cndmask_b32_e32 v4, v10, v4, vcc_lo
	v_cndmask_b32_e32 v3, v9, v3, vcc_lo
	v_xor_b32_e32 v4, v4, v5
	v_cndmask_b32_e64 v3, 0, v3, s0
	v_cndmask_b32_e64 v4, 0x7ff80000, v4, s0
	v_div_scale_f64 v[5:6], null, v[1:2], v[1:2], v[3:4]
	v_rcp_f64_e32 v[8:9], v[5:6]
	v_fma_f64 v[10:11], -v[5:6], v[8:9], 1.0
	v_fma_f64 v[8:9], v[8:9], v[10:11], v[8:9]
	v_fma_f64 v[10:11], -v[5:6], v[8:9], 1.0
	v_fma_f64 v[8:9], v[8:9], v[10:11], v[8:9]
	v_div_scale_f64 v[10:11], vcc_lo, v[3:4], v[1:2], v[3:4]
	v_mul_f64 v[12:13], v[10:11], v[8:9]
	v_fma_f64 v[5:6], -v[5:6], v[12:13], v[10:11]
	v_div_fmas_f64 v[5:6], v[5:6], v[8:9], v[12:13]
	v_div_fixup_f64 v[3:4], v[5:6], v[1:2], v[3:4]
                                        ; implicit-def: $vgpr1_vgpr2
.LBB5_155:
	s_andn2_saveexec_b32 s0, s20
	s_cbranch_execz .LBB5_157
; %bb.156:
	v_mul_f64 v[1:2], v[1:2], v[1:2]
	s_mov_b32 s20, 0x67f544e4
	s_mov_b32 s34, 0x13a86d09
	;; [unrolled: 1-line block ×4, first 2 shown]
	v_fma_f64 v[3:4], v[1:2], s[34:35], s[20:21]
	s_mov_b32 s20, 0xa556c734
	s_mov_b32 s21, 0x3ec71de3
	v_fma_f64 v[3:4], v[1:2], v[3:4], s[20:21]
	s_mov_b32 s20, 0x1a01a01a
	s_mov_b32 s21, 0xbf2a01a0
	;; [unrolled: 3-line block ×4, first 2 shown]
	v_fma_f64 v[3:4], v[1:2], v[3:4], s[20:21]
	v_fma_f64 v[3:4], v[1:2], v[3:4], 1.0
.LBB5_157:
	s_or_b32 exec_lo, exec_lo, s0
.LBB5_158:
	s_or_b32 exec_lo, exec_lo, s1
	v_add_nc_u32_e32 v7, 0x80, v7
	global_store_dwordx2 v0, v[3:4], s[4:5]
	s_or_b32 exec_lo, exec_lo, s30
	s_mov_b32 s30, exec_lo
	v_cmpx_gt_i32_e64 s27, v7
	s_cbranch_execnz .LBB5_134
.LBB5_159:
	s_or_b32 exec_lo, exec_lo, s30
	s_mov_b32 s20, exec_lo
	v_cmpx_gt_i32_e64 s27, v7
	s_cbranch_execnz .LBB5_180
.LBB5_160:
	s_or_b32 exec_lo, exec_lo, s20
                                        ; implicit-def: $vgpr11
                                        ; implicit-def: $vgpr7
	s_andn2_saveexec_b32 s0, s25
	s_cbranch_execnz .LBB5_8
.LBB5_161:
	s_endpgm
.LBB5_162:
	v_mov_b32_e32 v0, 0
	v_mov_b32_e32 v2, 0
	;; [unrolled: 1-line block ×3, first 2 shown]
	s_mov_b32 s31, 0
.LBB5_163:
	s_and_b32 s33, s33, 3
	s_cmp_eq_u32 s33, 0
	s_cbranch_scc1 .LBB5_166
; %bb.164:
	s_lshl_b32 s0, s31, 3
	s_mul_i32 s20, s31, 12
	s_add_u32 s0, s2, s0
	s_addc_u32 s1, s3, 0
	s_add_u32 s0, s0, 0xc4
	s_addc_u32 s1, s1, 0
	;; [unrolled: 2-line block ×3, first 2 shown]
	.p2align	6
.LBB5_165:                              ; =>This Inner Loop Header: Depth=1
	s_clause 0x1
	s_load_dwordx2 s[34:35], s[20:21], 0x4
	s_load_dword s31, s[20:21], 0xc
	s_load_dwordx2 s[36:37], s[0:1], 0x0
	s_add_u32 s20, s20, 12
	s_addc_u32 s21, s21, 0
	s_add_u32 s0, s0, 8
	s_addc_u32 s1, s1, 0
	s_add_i32 s33, s33, -1
	s_cmp_lg_u32 s33, 0
	s_waitcnt lgkmcnt(0)
	v_mul_hi_u32 v3, s35, v1
	v_add_nc_u32_e32 v3, v1, v3
	v_lshrrev_b32_e32 v4, s31, v3
	v_mul_lo_u32 v3, v4, s34
	v_sub_nc_u32_e32 v3, v1, v3
	v_mad_u64_u32 v[0:1], null, v3, s36, v[0:1]
	v_mad_u64_u32 v[2:3], null, v3, s37, v[2:3]
	v_mov_b32_e32 v1, v4
	s_cbranch_scc1 .LBB5_165
.LBB5_166:
	s_cbranch_execnz .LBB5_169
.LBB5_167:
	s_waitcnt lgkmcnt(0)
	v_mul_hi_u32 v0, s13, v7
	s_andn2_b32 vcc_lo, exec_lo, s26
	v_add_nc_u32_e32 v0, v7, v0
	v_lshrrev_b32_e32 v1, s14, v0
	v_mul_lo_u32 v0, v1, s12
	v_sub_nc_u32_e32 v2, v7, v0
	v_mul_lo_u32 v0, v2, s8
	v_mul_lo_u32 v2, v2, s9
	s_cbranch_vccnz .LBB5_169
; %bb.168:
	v_mul_hi_u32 v3, s16, v1
	v_add_nc_u32_e32 v3, v1, v3
	v_lshrrev_b32_e32 v3, s17, v3
	v_mul_lo_u32 v3, v3, s15
	v_sub_nc_u32_e32 v3, v1, v3
	v_mad_u64_u32 v[0:1], null, v3, s10, v[0:1]
	v_mad_u64_u32 v[2:3], null, v3, s11, v[2:3]
.LBB5_169:
	s_waitcnt lgkmcnt(0)
	global_load_dwordx2 v[1:2], v2, s[6:7]
	v_mov_b32_e32 v3, 0
	v_mov_b32_e32 v4, 0
	s_mov_b32 s1, exec_lo
	s_waitcnt vmcnt(0)
	v_cmpx_neq_f64_e64 0x7ff00000, |v[1:2]|
	s_cbranch_execz .LBB5_179
; %bb.170:
	s_mov_b32 s20, exec_lo
                                        ; implicit-def: $vgpr3_vgpr4
	v_cmpx_nlt_f64_e64 |v[1:2]|, 0.5
	s_xor_b32 s20, exec_lo, s20
	s_cbranch_execz .LBB5_176
; %bb.171:
	v_cmp_ngt_f64_e64 s0, 0x41d00000, |v[1:2]|
                                        ; implicit-def: $vgpr8
                                        ; implicit-def: $vgpr3_vgpr4
                                        ; implicit-def: $vgpr5_vgpr6
	s_and_saveexec_b32 s21, s0
	s_xor_b32 s0, exec_lo, s21
	s_cbranch_execz .LBB5_173
; %bb.172:
	v_ldexp_f64 v[3:4], |v[1:2]|, 0xffffff80
	v_cmp_le_f64_e64 vcc_lo, 0x7b000000, |v[1:2]|
	v_trig_preop_f64 v[5:6], |v[1:2]|, 0
	v_and_b32_e32 v8, 0x7fffffff, v2
	v_trig_preop_f64 v[18:19], |v[1:2]|, 2
	v_mov_b32_e32 v26, 0
	s_mov_b32 s34, 0x54442d18
	s_mov_b32 s35, 0x3ff921fb
	;; [unrolled: 1-line block ×4, first 2 shown]
	v_cndmask_b32_e32 v4, v8, v4, vcc_lo
	v_cndmask_b32_e32 v3, v1, v3, vcc_lo
	v_trig_preop_f64 v[8:9], |v[1:2]|, 1
	v_mul_f64 v[10:11], v[5:6], v[3:4]
	v_mul_f64 v[24:25], v[18:19], v[3:4]
	;; [unrolled: 1-line block ×3, first 2 shown]
	v_fma_f64 v[5:6], v[5:6], v[3:4], -v[10:11]
	v_fma_f64 v[8:9], v[8:9], v[3:4], -v[12:13]
	;; [unrolled: 1-line block ×3, first 2 shown]
	v_add_f64 v[14:15], v[12:13], v[5:6]
	v_add_f64 v[16:17], v[14:15], -v[12:13]
	v_add_f64 v[22:23], v[10:11], v[14:15]
	v_add_f64 v[20:21], v[14:15], -v[16:17]
	v_add_f64 v[5:6], v[5:6], -v[16:17]
	v_ldexp_f64 v[16:17], v[22:23], -2
	v_add_f64 v[10:11], v[22:23], -v[10:11]
	v_add_f64 v[12:13], v[12:13], -v[20:21]
	v_add_f64 v[20:21], v[24:25], v[8:9]
	v_cmp_neq_f64_e64 vcc_lo, 0x7ff00000, |v[16:17]|
	v_add_f64 v[10:11], v[14:15], -v[10:11]
	v_add_f64 v[5:6], v[5:6], v[12:13]
	v_fract_f64_e32 v[12:13], v[16:17]
	v_add_f64 v[14:15], v[20:21], v[5:6]
	v_ldexp_f64 v[12:13], v[12:13], 2
	v_add_f64 v[16:17], v[10:11], v[14:15]
	v_cndmask_b32_e32 v13, 0, v13, vcc_lo
	v_cndmask_b32_e32 v12, 0, v12, vcc_lo
	v_add_f64 v[22:23], v[16:17], v[12:13]
	v_add_f64 v[10:11], v[16:17], -v[10:11]
	v_cmp_gt_f64_e32 vcc_lo, 0, v[22:23]
	v_add_f64 v[22:23], v[20:21], -v[24:25]
	v_cndmask_b32_e64 v27, 0, 0x40100000, vcc_lo
	v_add_f64 v[31:32], v[20:21], -v[22:23]
	v_add_f64 v[8:9], v[8:9], -v[22:23]
	v_add_f64 v[12:13], v[12:13], v[26:27]
	v_add_f64 v[27:28], v[14:15], -v[20:21]
	v_add_f64 v[22:23], v[24:25], -v[31:32]
	v_add_f64 v[29:30], v[16:17], v[12:13]
	;; [unrolled: 3-line block ×3, first 2 shown]
	v_cvt_i32_f64_e32 v29, v[29:30]
	v_add_f64 v[20:21], v[20:21], -v[33:34]
	v_cvt_f64_i32_e32 v[27:28], v29
	v_add_f64 v[5:6], v[5:6], v[20:21]
	v_add_f64 v[12:13], v[12:13], -v[27:28]
	v_add_f64 v[5:6], v[8:9], v[5:6]
	v_add_f64 v[8:9], v[14:15], -v[10:11]
	v_add_f64 v[18:19], v[16:17], v[12:13]
	v_add_f64 v[3:4], v[3:4], v[5:6]
	v_add_f64 v[5:6], v[18:19], -v[12:13]
	v_cmp_le_f64_e32 vcc_lo, 0.5, v[18:19]
	v_add_f64 v[3:4], v[8:9], v[3:4]
	v_add_f64 v[5:6], v[16:17], -v[5:6]
	v_cndmask_b32_e64 v27, 0, 0x3ff00000, vcc_lo
	v_add_co_ci_u32_e64 v8, null, 0, v29, vcc_lo
	v_add_f64 v[3:4], v[3:4], v[5:6]
	v_add_f64 v[5:6], v[18:19], -v[26:27]
	v_add_f64 v[9:10], v[5:6], v[3:4]
	v_mul_f64 v[11:12], v[9:10], s[34:35]
	v_add_f64 v[5:6], v[9:10], -v[5:6]
	v_fma_f64 v[13:14], v[9:10], s[34:35], -v[11:12]
	v_add_f64 v[3:4], v[3:4], -v[5:6]
	v_fma_f64 v[5:6], v[9:10], s[36:37], v[13:14]
	v_fma_f64 v[5:6], v[3:4], s[34:35], v[5:6]
	v_add_f64 v[3:4], v[11:12], v[5:6]
	v_add_f64 v[9:10], v[3:4], -v[11:12]
	v_add_f64 v[5:6], v[5:6], -v[9:10]
.LBB5_173:
	s_andn2_saveexec_b32 s0, s0
	s_cbranch_execz .LBB5_175
; %bb.174:
	s_mov_b32 s34, 0x6dc9c883
	s_mov_b32 s35, 0x3fe45f30
	;; [unrolled: 1-line block ×3, first 2 shown]
	v_mul_f64 v[3:4], |v[1:2]|, s[34:35]
	s_mov_b32 s34, 0x54442d18
	s_mov_b32 s35, 0xbff921fb
	;; [unrolled: 1-line block ×3, first 2 shown]
	v_rndne_f64_e32 v[8:9], v[3:4]
	v_fma_f64 v[3:4], v[8:9], s[34:35], |v[1:2]|
	v_mul_f64 v[5:6], v[8:9], s[36:37]
	s_mov_b32 s34, 0x252049c0
	s_mov_b32 s35, 0xb97b839a
	v_fma_f64 v[12:13], v[8:9], s[36:37], v[3:4]
	v_add_f64 v[10:11], v[3:4], v[5:6]
	s_mov_b32 s37, 0x3c91a626
	v_add_f64 v[3:4], v[3:4], -v[10:11]
	v_add_f64 v[10:11], v[10:11], -v[12:13]
	v_add_f64 v[3:4], v[3:4], v[5:6]
	v_fma_f64 v[5:6], v[8:9], s[36:37], v[5:6]
	v_add_f64 v[3:4], v[10:11], v[3:4]
	v_add_f64 v[3:4], v[3:4], -v[5:6]
	v_fma_f64 v[5:6], v[8:9], s[34:35], v[3:4]
	v_cvt_i32_f64_e32 v8, v[8:9]
	v_add_f64 v[3:4], v[12:13], v[5:6]
	v_add_f64 v[10:11], v[3:4], -v[12:13]
	v_add_f64 v[5:6], v[5:6], -v[10:11]
.LBB5_175:
	s_or_b32 exec_lo, exec_lo, s0
	v_mul_f64 v[9:10], v[3:4], v[3:4]
	s_mov_b32 s34, 0xb42fdfa7
	s_mov_b32 s36, 0xf9a43bb8
	;; [unrolled: 1-line block ×6, first 2 shown]
	v_mul_f64 v[19:20], v[5:6], 0.5
	v_cmp_class_f64_e64 s0, v[1:2], 0x1f8
	v_fma_f64 v[11:12], v[9:10], s[36:37], s[34:35]
	s_mov_b32 s34, 0x9037ab78
	s_mov_b32 s36, 0x46cc5e42
	;; [unrolled: 1-line block ×4, first 2 shown]
	v_mul_f64 v[15:16], v[9:10], 0.5
	v_fma_f64 v[13:14], v[9:10], s[36:37], s[34:35]
	s_mov_b32 s34, 0xa17f65f6
	s_mov_b32 s36, 0x19e83e5c
	;; [unrolled: 1-line block ×4, first 2 shown]
	v_mul_f64 v[21:22], v[3:4], -v[9:10]
	v_fma_f64 v[11:12], v[9:10], v[11:12], s[38:39]
	v_add_f64 v[17:18], -v[15:16], 1.0
	v_fma_f64 v[13:14], v[9:10], v[13:14], s[34:35]
	s_mov_b32 s34, 0x19f4ec90
	s_mov_b32 s35, 0x3efa01a0
	v_fma_f64 v[11:12], v[9:10], v[11:12], s[36:37]
	s_mov_b32 s36, 0x11110bb3
	s_mov_b32 s37, 0x3f811111
	v_add_f64 v[23:24], -v[17:18], 1.0
	v_fma_f64 v[13:14], v[9:10], v[13:14], s[34:35]
	s_mov_b32 s34, 0x16c16967
	s_mov_b32 s35, 0xbf56c16c
	v_fma_f64 v[11:12], v[9:10], v[11:12], s[36:37]
	v_add_f64 v[15:16], v[23:24], -v[15:16]
	v_fma_f64 v[13:14], v[9:10], v[13:14], s[34:35]
	s_mov_b32 s35, 0x3fa55555
	s_mov_b32 s34, 0x55555555
	v_fma_f64 v[11:12], v[21:22], v[11:12], v[19:20]
	v_mul_f64 v[19:20], v[9:10], v[9:10]
	v_fma_f64 v[15:16], v[3:4], -v[5:6], v[15:16]
	v_fma_f64 v[13:14], v[9:10], v[13:14], s[34:35]
	s_mov_b32 s35, 0xbfc55555
	v_fma_f64 v[5:6], v[9:10], v[11:12], -v[5:6]
	v_fma_f64 v[9:10], v[19:20], v[13:14], v[15:16]
	v_fma_f64 v[5:6], v[21:22], s[34:35], v[5:6]
	v_add_f64 v[9:10], v[17:18], v[9:10]
	v_add_f64 v[3:4], v[3:4], -v[5:6]
	v_and_b32_e32 v5, 1, v8
	v_cmp_eq_u32_e32 vcc_lo, 0, v5
	v_lshlrev_b32_e32 v5, 30, v8
	v_xor_b32_e32 v5, v5, v2
	v_and_b32_e32 v5, 0x80000000, v5
	v_cndmask_b32_e32 v4, v10, v4, vcc_lo
	v_cndmask_b32_e32 v3, v9, v3, vcc_lo
	v_xor_b32_e32 v4, v4, v5
	v_cndmask_b32_e64 v3, 0, v3, s0
	v_cndmask_b32_e64 v4, 0x7ff80000, v4, s0
	v_div_scale_f64 v[5:6], null, v[1:2], v[1:2], v[3:4]
	v_rcp_f64_e32 v[8:9], v[5:6]
	v_fma_f64 v[10:11], -v[5:6], v[8:9], 1.0
	v_fma_f64 v[8:9], v[8:9], v[10:11], v[8:9]
	v_fma_f64 v[10:11], -v[5:6], v[8:9], 1.0
	v_fma_f64 v[8:9], v[8:9], v[10:11], v[8:9]
	v_div_scale_f64 v[10:11], vcc_lo, v[3:4], v[1:2], v[3:4]
	v_mul_f64 v[12:13], v[10:11], v[8:9]
	v_fma_f64 v[5:6], -v[5:6], v[12:13], v[10:11]
	v_div_fmas_f64 v[5:6], v[5:6], v[8:9], v[12:13]
	v_div_fixup_f64 v[3:4], v[5:6], v[1:2], v[3:4]
                                        ; implicit-def: $vgpr1_vgpr2
.LBB5_176:
	s_andn2_saveexec_b32 s0, s20
	s_cbranch_execz .LBB5_178
; %bb.177:
	v_mul_f64 v[1:2], v[1:2], v[1:2]
	s_mov_b32 s20, 0x67f544e4
	s_mov_b32 s34, 0x13a86d09
	;; [unrolled: 1-line block ×4, first 2 shown]
	v_fma_f64 v[3:4], v[1:2], s[34:35], s[20:21]
	s_mov_b32 s20, 0xa556c734
	s_mov_b32 s21, 0x3ec71de3
	v_fma_f64 v[3:4], v[1:2], v[3:4], s[20:21]
	s_mov_b32 s20, 0x1a01a01a
	s_mov_b32 s21, 0xbf2a01a0
	;; [unrolled: 3-line block ×4, first 2 shown]
	v_fma_f64 v[3:4], v[1:2], v[3:4], s[20:21]
	v_fma_f64 v[3:4], v[1:2], v[3:4], 1.0
.LBB5_178:
	s_or_b32 exec_lo, exec_lo, s0
.LBB5_179:
	s_or_b32 exec_lo, exec_lo, s1
	v_add_nc_u32_e32 v7, 0x80, v7
	global_store_dwordx2 v0, v[3:4], s[4:5]
	s_or_b32 exec_lo, exec_lo, s30
	s_mov_b32 s20, exec_lo
	v_cmpx_gt_i32_e64 s27, v7
	s_cbranch_execz .LBB5_160
.LBB5_180:
	s_andn2_b32 vcc_lo, exec_lo, s24
	s_cbranch_vccnz .LBB5_185
; %bb.181:
	s_andn2_b32 vcc_lo, exec_lo, s29
	s_cbranch_vccnz .LBB5_186
; %bb.182:
	s_add_i32 s28, s28, 1
	s_cmp_eq_u32 s23, 2
	s_cbranch_scc1 .LBB5_187
; %bb.183:
	v_mov_b32_e32 v2, 0
	v_mov_b32_e32 v0, 0
	;; [unrolled: 1-line block ×3, first 2 shown]
	s_and_b32 s21, s28, 28
	s_mov_b32 s27, 0
	s_mov_b64 s[0:1], s[2:3]
.LBB5_184:                              ; =>This Inner Loop Header: Depth=1
	s_clause 0x1
	s_load_dwordx8 s[36:43], s[0:1], 0x4
	s_load_dwordx4 s[52:55], s[0:1], 0x24
	s_load_dwordx8 s[44:51], s[18:19], 0x0
	s_add_u32 s0, s0, 48
	s_addc_u32 s1, s1, 0
	s_add_i32 s27, s27, 4
	s_add_u32 s18, s18, 32
	s_addc_u32 s19, s19, 0
	s_cmp_eq_u32 s21, s27
	s_waitcnt lgkmcnt(0)
	v_mul_hi_u32 v3, s37, v1
	v_add_nc_u32_e32 v3, v1, v3
	v_lshrrev_b32_e32 v3, s38, v3
	v_mul_hi_u32 v4, s40, v3
	v_mul_lo_u32 v6, v3, s36
	v_add_nc_u32_e32 v4, v3, v4
	v_sub_nc_u32_e32 v1, v1, v6
	v_lshrrev_b32_e32 v4, s41, v4
	v_mul_lo_u32 v6, v1, s44
	v_mul_lo_u32 v9, v1, s45
	v_mul_hi_u32 v5, s43, v4
	v_add_nc_u32_e32 v5, v4, v5
	v_lshrrev_b32_e32 v5, s52, v5
	v_mul_hi_u32 v8, s54, v5
	v_mul_lo_u32 v10, v5, s42
	v_add_nc_u32_e32 v1, v5, v8
	v_mul_lo_u32 v8, v4, s39
	v_sub_nc_u32_e32 v4, v4, v10
	v_lshrrev_b32_e32 v1, s55, v1
	v_mul_lo_u32 v10, v4, s48
	v_mul_lo_u32 v4, v4, s49
	v_sub_nc_u32_e32 v3, v3, v8
	v_mul_lo_u32 v11, v1, s53
	v_mul_lo_u32 v8, v3, s46
	;; [unrolled: 1-line block ×3, first 2 shown]
	v_sub_nc_u32_e32 v5, v5, v11
	v_add3_u32 v0, v6, v0, v8
	v_mul_lo_u32 v11, v5, s50
	v_mul_lo_u32 v5, v5, s51
	v_add3_u32 v2, v9, v2, v3
	v_add3_u32 v0, v10, v0, v11
	;; [unrolled: 1-line block ×3, first 2 shown]
	s_cbranch_scc0 .LBB5_184
	s_branch .LBB5_188
.LBB5_185:
                                        ; implicit-def: $vgpr0
                                        ; implicit-def: $vgpr2
	s_branch .LBB5_192
.LBB5_186:
	v_mov_b32_e32 v0, 0
	v_mov_b32_e32 v2, 0
	s_branch .LBB5_191
.LBB5_187:
	v_mov_b32_e32 v0, 0
	v_mov_b32_e32 v2, 0
	;; [unrolled: 1-line block ×3, first 2 shown]
	s_mov_b32 s21, 0
.LBB5_188:
	s_and_b32 s27, s28, 3
	s_cmp_eq_u32 s27, 0
	s_cbranch_scc1 .LBB5_191
; %bb.189:
	s_lshl_b32 s0, s21, 3
	s_mul_i32 s18, s21, 12
	s_add_u32 s0, s2, s0
	s_addc_u32 s1, s3, 0
	s_add_u32 s0, s0, 0xc4
	s_addc_u32 s1, s1, 0
	;; [unrolled: 2-line block ×3, first 2 shown]
	.p2align	6
.LBB5_190:                              ; =>This Inner Loop Header: Depth=1
	s_clause 0x1
	s_load_dwordx2 s[28:29], s[18:19], 0x4
	s_load_dword s21, s[18:19], 0xc
	s_load_dwordx2 s[30:31], s[0:1], 0x0
	s_add_u32 s18, s18, 12
	s_addc_u32 s19, s19, 0
	s_add_u32 s0, s0, 8
	s_addc_u32 s1, s1, 0
	s_add_i32 s27, s27, -1
	s_cmp_lg_u32 s27, 0
	s_waitcnt lgkmcnt(0)
	v_mul_hi_u32 v3, s29, v1
	v_add_nc_u32_e32 v3, v1, v3
	v_lshrrev_b32_e32 v4, s21, v3
	v_mul_lo_u32 v3, v4, s28
	v_sub_nc_u32_e32 v3, v1, v3
	v_mad_u64_u32 v[0:1], null, v3, s30, v[0:1]
	v_mad_u64_u32 v[2:3], null, v3, s31, v[2:3]
	v_mov_b32_e32 v1, v4
	s_cbranch_scc1 .LBB5_190
.LBB5_191:
	s_cbranch_execnz .LBB5_194
.LBB5_192:
	s_waitcnt lgkmcnt(0)
	v_mul_hi_u32 v0, s13, v7
	s_andn2_b32 vcc_lo, exec_lo, s26
	v_add_nc_u32_e32 v0, v7, v0
	v_lshrrev_b32_e32 v1, s14, v0
	v_mul_lo_u32 v0, v1, s12
	v_sub_nc_u32_e32 v2, v7, v0
	v_mul_lo_u32 v0, v2, s8
	v_mul_lo_u32 v2, v2, s9
	s_cbranch_vccnz .LBB5_194
; %bb.193:
	v_mul_hi_u32 v3, s16, v1
	v_add_nc_u32_e32 v3, v1, v3
	v_lshrrev_b32_e32 v3, s17, v3
	v_mul_lo_u32 v3, v3, s15
	v_sub_nc_u32_e32 v3, v1, v3
	v_mad_u64_u32 v[0:1], null, v3, s10, v[0:1]
	v_mad_u64_u32 v[2:3], null, v3, s11, v[2:3]
.LBB5_194:
	s_waitcnt lgkmcnt(0)
	global_load_dwordx2 v[1:2], v2, s[6:7]
	v_mov_b32_e32 v3, 0
	v_mov_b32_e32 v4, 0
	s_mov_b32 s1, exec_lo
	s_waitcnt vmcnt(0)
	v_cmpx_neq_f64_e64 0x7ff00000, |v[1:2]|
	s_cbranch_execz .LBB5_204
; %bb.195:
	s_mov_b32 s6, exec_lo
                                        ; implicit-def: $vgpr3_vgpr4
	v_cmpx_nlt_f64_e64 |v[1:2]|, 0.5
	s_xor_b32 s6, exec_lo, s6
	s_cbranch_execz .LBB5_201
; %bb.196:
	v_cmp_ngt_f64_e64 s0, 0x41d00000, |v[1:2]|
                                        ; implicit-def: $vgpr7
                                        ; implicit-def: $vgpr3_vgpr4
                                        ; implicit-def: $vgpr5_vgpr6
	s_and_saveexec_b32 s7, s0
	s_xor_b32 s0, exec_lo, s7
	s_cbranch_execz .LBB5_198
; %bb.197:
	v_ldexp_f64 v[3:4], |v[1:2]|, 0xffffff80
	v_cmp_le_f64_e64 vcc_lo, 0x7b000000, |v[1:2]|
	v_trig_preop_f64 v[5:6], |v[1:2]|, 0
	v_and_b32_e32 v7, 0x7fffffff, v2
	v_trig_preop_f64 v[17:18], |v[1:2]|, 2
	v_mov_b32_e32 v25, 0
	s_mov_b32 s8, 0x54442d18
	s_mov_b32 s9, 0x3ff921fb
	;; [unrolled: 1-line block ×4, first 2 shown]
	v_cndmask_b32_e32 v4, v7, v4, vcc_lo
	v_cndmask_b32_e32 v3, v1, v3, vcc_lo
	v_trig_preop_f64 v[7:8], |v[1:2]|, 1
	v_mul_f64 v[9:10], v[5:6], v[3:4]
	v_mul_f64 v[23:24], v[17:18], v[3:4]
	;; [unrolled: 1-line block ×3, first 2 shown]
	v_fma_f64 v[5:6], v[5:6], v[3:4], -v[9:10]
	v_fma_f64 v[7:8], v[7:8], v[3:4], -v[11:12]
	;; [unrolled: 1-line block ×3, first 2 shown]
	v_add_f64 v[13:14], v[11:12], v[5:6]
	v_add_f64 v[15:16], v[13:14], -v[11:12]
	v_add_f64 v[21:22], v[9:10], v[13:14]
	v_add_f64 v[19:20], v[13:14], -v[15:16]
	v_add_f64 v[5:6], v[5:6], -v[15:16]
	v_ldexp_f64 v[15:16], v[21:22], -2
	v_add_f64 v[9:10], v[21:22], -v[9:10]
	v_add_f64 v[11:12], v[11:12], -v[19:20]
	v_add_f64 v[19:20], v[23:24], v[7:8]
	v_cmp_neq_f64_e64 vcc_lo, 0x7ff00000, |v[15:16]|
	v_add_f64 v[9:10], v[13:14], -v[9:10]
	v_add_f64 v[5:6], v[5:6], v[11:12]
	v_fract_f64_e32 v[11:12], v[15:16]
	v_add_f64 v[13:14], v[19:20], v[5:6]
	v_ldexp_f64 v[11:12], v[11:12], 2
	v_add_f64 v[15:16], v[9:10], v[13:14]
	v_cndmask_b32_e32 v12, 0, v12, vcc_lo
	v_cndmask_b32_e32 v11, 0, v11, vcc_lo
	v_add_f64 v[21:22], v[15:16], v[11:12]
	v_add_f64 v[9:10], v[15:16], -v[9:10]
	v_cmp_gt_f64_e32 vcc_lo, 0, v[21:22]
	v_add_f64 v[21:22], v[19:20], -v[23:24]
	v_cndmask_b32_e64 v26, 0, 0x40100000, vcc_lo
	v_add_f64 v[30:31], v[19:20], -v[21:22]
	v_add_f64 v[7:8], v[7:8], -v[21:22]
	v_add_f64 v[11:12], v[11:12], v[25:26]
	v_add_f64 v[26:27], v[13:14], -v[19:20]
	v_add_f64 v[21:22], v[23:24], -v[30:31]
	v_add_f64 v[28:29], v[15:16], v[11:12]
	;; [unrolled: 3-line block ×3, first 2 shown]
	v_cvt_i32_f64_e32 v28, v[28:29]
	v_add_f64 v[19:20], v[19:20], -v[32:33]
	v_cvt_f64_i32_e32 v[26:27], v28
	v_add_f64 v[5:6], v[5:6], v[19:20]
	v_add_f64 v[11:12], v[11:12], -v[26:27]
	v_add_f64 v[5:6], v[7:8], v[5:6]
	v_add_f64 v[7:8], v[13:14], -v[9:10]
	v_add_f64 v[17:18], v[15:16], v[11:12]
	v_add_f64 v[3:4], v[3:4], v[5:6]
	v_add_f64 v[5:6], v[17:18], -v[11:12]
	v_cmp_le_f64_e32 vcc_lo, 0.5, v[17:18]
	v_add_f64 v[3:4], v[7:8], v[3:4]
	v_add_f64 v[5:6], v[15:16], -v[5:6]
	v_cndmask_b32_e64 v26, 0, 0x3ff00000, vcc_lo
	v_add_co_ci_u32_e64 v7, null, 0, v28, vcc_lo
	v_add_f64 v[3:4], v[3:4], v[5:6]
	v_add_f64 v[5:6], v[17:18], -v[25:26]
	v_add_f64 v[8:9], v[5:6], v[3:4]
	v_mul_f64 v[10:11], v[8:9], s[8:9]
	v_add_f64 v[5:6], v[8:9], -v[5:6]
	v_fma_f64 v[12:13], v[8:9], s[8:9], -v[10:11]
	v_add_f64 v[3:4], v[3:4], -v[5:6]
	v_fma_f64 v[5:6], v[8:9], s[10:11], v[12:13]
	v_fma_f64 v[5:6], v[3:4], s[8:9], v[5:6]
	v_add_f64 v[3:4], v[10:11], v[5:6]
	v_add_f64 v[8:9], v[3:4], -v[10:11]
	v_add_f64 v[5:6], v[5:6], -v[8:9]
.LBB5_198:
	s_andn2_saveexec_b32 s0, s0
	s_cbranch_execz .LBB5_200
; %bb.199:
	s_mov_b32 s8, 0x6dc9c883
	s_mov_b32 s9, 0x3fe45f30
	;; [unrolled: 1-line block ×3, first 2 shown]
	v_mul_f64 v[3:4], |v[1:2]|, s[8:9]
	s_mov_b32 s8, 0x54442d18
	s_mov_b32 s9, 0xbff921fb
	s_mov_b32 s10, 0x33145c00
	v_rndne_f64_e32 v[7:8], v[3:4]
	v_fma_f64 v[3:4], v[7:8], s[8:9], |v[1:2]|
	v_mul_f64 v[5:6], v[7:8], s[10:11]
	s_mov_b32 s8, 0x252049c0
	s_mov_b32 s9, 0xb97b839a
	v_fma_f64 v[11:12], v[7:8], s[10:11], v[3:4]
	v_add_f64 v[9:10], v[3:4], v[5:6]
	s_mov_b32 s11, 0x3c91a626
	v_add_f64 v[3:4], v[3:4], -v[9:10]
	v_add_f64 v[9:10], v[9:10], -v[11:12]
	v_add_f64 v[3:4], v[3:4], v[5:6]
	v_fma_f64 v[5:6], v[7:8], s[10:11], v[5:6]
	v_add_f64 v[3:4], v[9:10], v[3:4]
	v_add_f64 v[3:4], v[3:4], -v[5:6]
	v_fma_f64 v[5:6], v[7:8], s[8:9], v[3:4]
	v_cvt_i32_f64_e32 v7, v[7:8]
	v_add_f64 v[3:4], v[11:12], v[5:6]
	v_add_f64 v[9:10], v[3:4], -v[11:12]
	v_add_f64 v[5:6], v[5:6], -v[9:10]
.LBB5_200:
	s_or_b32 exec_lo, exec_lo, s0
	v_mul_f64 v[8:9], v[3:4], v[3:4]
	s_mov_b32 s8, 0xb42fdfa7
	s_mov_b32 s10, 0xf9a43bb8
	;; [unrolled: 1-line block ×6, first 2 shown]
	v_mul_f64 v[18:19], v[5:6], 0.5
	v_cmp_class_f64_e64 s0, v[1:2], 0x1f8
	v_fma_f64 v[10:11], v[8:9], s[10:11], s[8:9]
	s_mov_b32 s8, 0x9037ab78
	s_mov_b32 s10, 0x46cc5e42
	;; [unrolled: 1-line block ×4, first 2 shown]
	v_mul_f64 v[14:15], v[8:9], 0.5
	v_fma_f64 v[12:13], v[8:9], s[10:11], s[8:9]
	s_mov_b32 s8, 0xa17f65f6
	s_mov_b32 s10, 0x19e83e5c
	;; [unrolled: 1-line block ×4, first 2 shown]
	v_mul_f64 v[20:21], v[3:4], -v[8:9]
	v_fma_f64 v[10:11], v[8:9], v[10:11], s[12:13]
	v_add_f64 v[16:17], -v[14:15], 1.0
	v_fma_f64 v[12:13], v[8:9], v[12:13], s[8:9]
	s_mov_b32 s8, 0x19f4ec90
	s_mov_b32 s9, 0x3efa01a0
	v_fma_f64 v[10:11], v[8:9], v[10:11], s[10:11]
	s_mov_b32 s10, 0x11110bb3
	s_mov_b32 s11, 0x3f811111
	v_add_f64 v[22:23], -v[16:17], 1.0
	v_fma_f64 v[12:13], v[8:9], v[12:13], s[8:9]
	s_mov_b32 s8, 0x16c16967
	s_mov_b32 s9, 0xbf56c16c
	v_fma_f64 v[10:11], v[8:9], v[10:11], s[10:11]
	v_add_f64 v[14:15], v[22:23], -v[14:15]
	v_fma_f64 v[12:13], v[8:9], v[12:13], s[8:9]
	s_mov_b32 s9, 0x3fa55555
	s_mov_b32 s8, 0x55555555
	v_fma_f64 v[10:11], v[20:21], v[10:11], v[18:19]
	v_mul_f64 v[18:19], v[8:9], v[8:9]
	v_fma_f64 v[14:15], v[3:4], -v[5:6], v[14:15]
	v_fma_f64 v[12:13], v[8:9], v[12:13], s[8:9]
	s_mov_b32 s9, 0xbfc55555
	v_fma_f64 v[5:6], v[8:9], v[10:11], -v[5:6]
	v_fma_f64 v[8:9], v[18:19], v[12:13], v[14:15]
	v_fma_f64 v[5:6], v[20:21], s[8:9], v[5:6]
	v_add_f64 v[8:9], v[16:17], v[8:9]
	v_add_f64 v[3:4], v[3:4], -v[5:6]
	v_and_b32_e32 v5, 1, v7
	v_cmp_eq_u32_e32 vcc_lo, 0, v5
	v_lshlrev_b32_e32 v5, 30, v7
	v_xor_b32_e32 v5, v5, v2
	v_and_b32_e32 v5, 0x80000000, v5
	v_cndmask_b32_e32 v4, v9, v4, vcc_lo
	v_cndmask_b32_e32 v3, v8, v3, vcc_lo
	v_xor_b32_e32 v4, v4, v5
	v_cndmask_b32_e64 v3, 0, v3, s0
	v_cndmask_b32_e64 v4, 0x7ff80000, v4, s0
	v_div_scale_f64 v[5:6], null, v[1:2], v[1:2], v[3:4]
	v_rcp_f64_e32 v[7:8], v[5:6]
	v_fma_f64 v[9:10], -v[5:6], v[7:8], 1.0
	v_fma_f64 v[7:8], v[7:8], v[9:10], v[7:8]
	v_fma_f64 v[9:10], -v[5:6], v[7:8], 1.0
	v_fma_f64 v[7:8], v[7:8], v[9:10], v[7:8]
	v_div_scale_f64 v[9:10], vcc_lo, v[3:4], v[1:2], v[3:4]
	v_mul_f64 v[11:12], v[9:10], v[7:8]
	v_fma_f64 v[5:6], -v[5:6], v[11:12], v[9:10]
	v_div_fmas_f64 v[5:6], v[5:6], v[7:8], v[11:12]
	v_div_fixup_f64 v[3:4], v[5:6], v[1:2], v[3:4]
                                        ; implicit-def: $vgpr1_vgpr2
.LBB5_201:
	s_andn2_saveexec_b32 s0, s6
	s_cbranch_execz .LBB5_203
; %bb.202:
	v_mul_f64 v[1:2], v[1:2], v[1:2]
	s_mov_b32 s6, 0x67f544e4
	s_mov_b32 s8, 0x13a86d09
	;; [unrolled: 1-line block ×4, first 2 shown]
	v_fma_f64 v[3:4], v[1:2], s[8:9], s[6:7]
	s_mov_b32 s6, 0xa556c734
	s_mov_b32 s7, 0x3ec71de3
	v_fma_f64 v[3:4], v[1:2], v[3:4], s[6:7]
	s_mov_b32 s6, 0x1a01a01a
	s_mov_b32 s7, 0xbf2a01a0
	;; [unrolled: 3-line block ×4, first 2 shown]
	v_fma_f64 v[3:4], v[1:2], v[3:4], s[6:7]
	v_fma_f64 v[3:4], v[1:2], v[3:4], 1.0
.LBB5_203:
	s_or_b32 exec_lo, exec_lo, s0
.LBB5_204:
	s_or_b32 exec_lo, exec_lo, s1
	global_store_dwordx2 v0, v[3:4], s[4:5]
	s_or_b32 exec_lo, exec_lo, s20
                                        ; implicit-def: $vgpr11
                                        ; implicit-def: $vgpr7
	s_andn2_saveexec_b32 s0, s25
	s_cbranch_execz .LBB5_161
	s_branch .LBB5_8
	.section	.rodata,"a",@progbits
	.p2align	6, 0x0
	.amdhsa_kernel _ZN2at6native32elementwise_kernel_manual_unrollILi128ELi4EZNS0_22gpu_kernel_impl_nocastIZZZNS0_12_GLOBAL__N_131spherical_bessel_j0_kernel_cudaERNS_18TensorIteratorBaseEENKUlvE_clEvENKUlvE_clEvEUldE_EEvS5_RKT_EUlibE_EEviT1_
		.amdhsa_group_segment_fixed_size 0
		.amdhsa_private_segment_fixed_size 0
		.amdhsa_kernarg_size 360
		.amdhsa_user_sgpr_count 6
		.amdhsa_user_sgpr_private_segment_buffer 1
		.amdhsa_user_sgpr_dispatch_ptr 0
		.amdhsa_user_sgpr_queue_ptr 0
		.amdhsa_user_sgpr_kernarg_segment_ptr 1
		.amdhsa_user_sgpr_dispatch_id 0
		.amdhsa_user_sgpr_flat_scratch_init 0
		.amdhsa_user_sgpr_private_segment_size 0
		.amdhsa_wavefront_size32 1
		.amdhsa_uses_dynamic_stack 0
		.amdhsa_system_sgpr_private_segment_wavefront_offset 0
		.amdhsa_system_sgpr_workgroup_id_x 1
		.amdhsa_system_sgpr_workgroup_id_y 0
		.amdhsa_system_sgpr_workgroup_id_z 0
		.amdhsa_system_sgpr_workgroup_info 0
		.amdhsa_system_vgpr_workitem_id 0
		.amdhsa_next_free_vgpr 45
		.amdhsa_next_free_sgpr 56
		.amdhsa_reserve_vcc 1
		.amdhsa_reserve_flat_scratch 0
		.amdhsa_float_round_mode_32 0
		.amdhsa_float_round_mode_16_64 0
		.amdhsa_float_denorm_mode_32 3
		.amdhsa_float_denorm_mode_16_64 3
		.amdhsa_dx10_clamp 1
		.amdhsa_ieee_mode 1
		.amdhsa_fp16_overflow 0
		.amdhsa_workgroup_processor_mode 1
		.amdhsa_memory_ordered 1
		.amdhsa_forward_progress 1
		.amdhsa_shared_vgpr_count 0
		.amdhsa_exception_fp_ieee_invalid_op 0
		.amdhsa_exception_fp_denorm_src 0
		.amdhsa_exception_fp_ieee_div_zero 0
		.amdhsa_exception_fp_ieee_overflow 0
		.amdhsa_exception_fp_ieee_underflow 0
		.amdhsa_exception_fp_ieee_inexact 0
		.amdhsa_exception_int_div_zero 0
	.end_amdhsa_kernel
	.section	.text._ZN2at6native32elementwise_kernel_manual_unrollILi128ELi4EZNS0_22gpu_kernel_impl_nocastIZZZNS0_12_GLOBAL__N_131spherical_bessel_j0_kernel_cudaERNS_18TensorIteratorBaseEENKUlvE_clEvENKUlvE_clEvEUldE_EEvS5_RKT_EUlibE_EEviT1_,"axG",@progbits,_ZN2at6native32elementwise_kernel_manual_unrollILi128ELi4EZNS0_22gpu_kernel_impl_nocastIZZZNS0_12_GLOBAL__N_131spherical_bessel_j0_kernel_cudaERNS_18TensorIteratorBaseEENKUlvE_clEvENKUlvE_clEvEUldE_EEvS5_RKT_EUlibE_EEviT1_,comdat
.Lfunc_end5:
	.size	_ZN2at6native32elementwise_kernel_manual_unrollILi128ELi4EZNS0_22gpu_kernel_impl_nocastIZZZNS0_12_GLOBAL__N_131spherical_bessel_j0_kernel_cudaERNS_18TensorIteratorBaseEENKUlvE_clEvENKUlvE_clEvEUldE_EEvS5_RKT_EUlibE_EEviT1_, .Lfunc_end5-_ZN2at6native32elementwise_kernel_manual_unrollILi128ELi4EZNS0_22gpu_kernel_impl_nocastIZZZNS0_12_GLOBAL__N_131spherical_bessel_j0_kernel_cudaERNS_18TensorIteratorBaseEENKUlvE_clEvENKUlvE_clEvEUldE_EEvS5_RKT_EUlibE_EEviT1_
                                        ; -- End function
	.set _ZN2at6native32elementwise_kernel_manual_unrollILi128ELi4EZNS0_22gpu_kernel_impl_nocastIZZZNS0_12_GLOBAL__N_131spherical_bessel_j0_kernel_cudaERNS_18TensorIteratorBaseEENKUlvE_clEvENKUlvE_clEvEUldE_EEvS5_RKT_EUlibE_EEviT1_.num_vgpr, 45
	.set _ZN2at6native32elementwise_kernel_manual_unrollILi128ELi4EZNS0_22gpu_kernel_impl_nocastIZZZNS0_12_GLOBAL__N_131spherical_bessel_j0_kernel_cudaERNS_18TensorIteratorBaseEENKUlvE_clEvENKUlvE_clEvEUldE_EEvS5_RKT_EUlibE_EEviT1_.num_agpr, 0
	.set _ZN2at6native32elementwise_kernel_manual_unrollILi128ELi4EZNS0_22gpu_kernel_impl_nocastIZZZNS0_12_GLOBAL__N_131spherical_bessel_j0_kernel_cudaERNS_18TensorIteratorBaseEENKUlvE_clEvENKUlvE_clEvEUldE_EEvS5_RKT_EUlibE_EEviT1_.numbered_sgpr, 56
	.set _ZN2at6native32elementwise_kernel_manual_unrollILi128ELi4EZNS0_22gpu_kernel_impl_nocastIZZZNS0_12_GLOBAL__N_131spherical_bessel_j0_kernel_cudaERNS_18TensorIteratorBaseEENKUlvE_clEvENKUlvE_clEvEUldE_EEvS5_RKT_EUlibE_EEviT1_.num_named_barrier, 0
	.set _ZN2at6native32elementwise_kernel_manual_unrollILi128ELi4EZNS0_22gpu_kernel_impl_nocastIZZZNS0_12_GLOBAL__N_131spherical_bessel_j0_kernel_cudaERNS_18TensorIteratorBaseEENKUlvE_clEvENKUlvE_clEvEUldE_EEvS5_RKT_EUlibE_EEviT1_.private_seg_size, 0
	.set _ZN2at6native32elementwise_kernel_manual_unrollILi128ELi4EZNS0_22gpu_kernel_impl_nocastIZZZNS0_12_GLOBAL__N_131spherical_bessel_j0_kernel_cudaERNS_18TensorIteratorBaseEENKUlvE_clEvENKUlvE_clEvEUldE_EEvS5_RKT_EUlibE_EEviT1_.uses_vcc, 1
	.set _ZN2at6native32elementwise_kernel_manual_unrollILi128ELi4EZNS0_22gpu_kernel_impl_nocastIZZZNS0_12_GLOBAL__N_131spherical_bessel_j0_kernel_cudaERNS_18TensorIteratorBaseEENKUlvE_clEvENKUlvE_clEvEUldE_EEvS5_RKT_EUlibE_EEviT1_.uses_flat_scratch, 0
	.set _ZN2at6native32elementwise_kernel_manual_unrollILi128ELi4EZNS0_22gpu_kernel_impl_nocastIZZZNS0_12_GLOBAL__N_131spherical_bessel_j0_kernel_cudaERNS_18TensorIteratorBaseEENKUlvE_clEvENKUlvE_clEvEUldE_EEvS5_RKT_EUlibE_EEviT1_.has_dyn_sized_stack, 0
	.set _ZN2at6native32elementwise_kernel_manual_unrollILi128ELi4EZNS0_22gpu_kernel_impl_nocastIZZZNS0_12_GLOBAL__N_131spherical_bessel_j0_kernel_cudaERNS_18TensorIteratorBaseEENKUlvE_clEvENKUlvE_clEvEUldE_EEvS5_RKT_EUlibE_EEviT1_.has_recursion, 0
	.set _ZN2at6native32elementwise_kernel_manual_unrollILi128ELi4EZNS0_22gpu_kernel_impl_nocastIZZZNS0_12_GLOBAL__N_131spherical_bessel_j0_kernel_cudaERNS_18TensorIteratorBaseEENKUlvE_clEvENKUlvE_clEvEUldE_EEvS5_RKT_EUlibE_EEviT1_.has_indirect_call, 0
	.section	.AMDGPU.csdata,"",@progbits
; Kernel info:
; codeLenInByte = 18796
; TotalNumSgprs: 58
; NumVgprs: 45
; ScratchSize: 0
; MemoryBound: 0
; FloatMode: 240
; IeeeMode: 1
; LDSByteSize: 0 bytes/workgroup (compile time only)
; SGPRBlocks: 0
; VGPRBlocks: 5
; NumSGPRsForWavesPerEU: 58
; NumVGPRsForWavesPerEU: 45
; Occupancy: 16
; WaveLimiterHint : 1
; COMPUTE_PGM_RSRC2:SCRATCH_EN: 0
; COMPUTE_PGM_RSRC2:USER_SGPR: 6
; COMPUTE_PGM_RSRC2:TRAP_HANDLER: 0
; COMPUTE_PGM_RSRC2:TGID_X_EN: 1
; COMPUTE_PGM_RSRC2:TGID_Y_EN: 0
; COMPUTE_PGM_RSRC2:TGID_Z_EN: 0
; COMPUTE_PGM_RSRC2:TIDIG_COMP_CNT: 0
	.section	.text._ZN2at6native32elementwise_kernel_manual_unrollILi128ELi4EZNS0_15gpu_kernel_implIZZZNS0_12_GLOBAL__N_131spherical_bessel_j0_kernel_cudaERNS_18TensorIteratorBaseEENKUlvE_clEvENKUlvE_clEvEUldE_EEvS5_RKT_EUlibE_EEviT1_,"axG",@progbits,_ZN2at6native32elementwise_kernel_manual_unrollILi128ELi4EZNS0_15gpu_kernel_implIZZZNS0_12_GLOBAL__N_131spherical_bessel_j0_kernel_cudaERNS_18TensorIteratorBaseEENKUlvE_clEvENKUlvE_clEvEUldE_EEvS5_RKT_EUlibE_EEviT1_,comdat
	.globl	_ZN2at6native32elementwise_kernel_manual_unrollILi128ELi4EZNS0_15gpu_kernel_implIZZZNS0_12_GLOBAL__N_131spherical_bessel_j0_kernel_cudaERNS_18TensorIteratorBaseEENKUlvE_clEvENKUlvE_clEvEUldE_EEvS5_RKT_EUlibE_EEviT1_ ; -- Begin function _ZN2at6native32elementwise_kernel_manual_unrollILi128ELi4EZNS0_15gpu_kernel_implIZZZNS0_12_GLOBAL__N_131spherical_bessel_j0_kernel_cudaERNS_18TensorIteratorBaseEENKUlvE_clEvENKUlvE_clEvEUldE_EEvS5_RKT_EUlibE_EEviT1_
	.p2align	8
	.type	_ZN2at6native32elementwise_kernel_manual_unrollILi128ELi4EZNS0_15gpu_kernel_implIZZZNS0_12_GLOBAL__N_131spherical_bessel_j0_kernel_cudaERNS_18TensorIteratorBaseEENKUlvE_clEvENKUlvE_clEvEUldE_EEvS5_RKT_EUlibE_EEviT1_,@function
_ZN2at6native32elementwise_kernel_manual_unrollILi128ELi4EZNS0_15gpu_kernel_implIZZZNS0_12_GLOBAL__N_131spherical_bessel_j0_kernel_cudaERNS_18TensorIteratorBaseEENKUlvE_clEvENKUlvE_clEvEUldE_EEvS5_RKT_EUlibE_EEviT1_: ; @_ZN2at6native32elementwise_kernel_manual_unrollILi128ELi4EZNS0_15gpu_kernel_implIZZZNS0_12_GLOBAL__N_131spherical_bessel_j0_kernel_cudaERNS_18TensorIteratorBaseEENKUlvE_clEvENKUlvE_clEvEUldE_EEvS5_RKT_EUlibE_EEviT1_
; %bb.0:
	v_mov_b32_e32 v1, 0
	s_clause 0x2
	s_load_dword s12, s[4:5], 0x0
	s_load_dwordx2 s[2:3], s[4:5], 0x18
	s_load_dwordx4 s[8:11], s[4:5], 0x8
	v_lshl_or_b32 v14, s6, 9, v0
	s_mov_b32 s7, 0
	global_load_ushort v1, v1, s[4:5] offset:33
	s_mov_b32 s4, 0
	v_or_b32_e32 v0, 0x180, v14
	s_waitcnt vmcnt(0)
	v_readfirstlane_b32 s1, v1
	s_and_b32 s0, 0xffff, s1
	s_lshr_b32 s5, s0, 8
	s_mov_b32 s0, exec_lo
	s_waitcnt lgkmcnt(0)
	v_cmpx_le_i32_e64 s12, v0
	s_xor_b32 s6, exec_lo, s0
	s_cbranch_execz .LBB6_1071
; %bb.1:
	s_mov_b32 s17, -1
	s_mov_b32 s15, 0
	s_mov_b32 s13, 0
	s_mov_b32 s14, exec_lo
	v_cmpx_gt_i32_e64 s12, v14
	s_cbranch_execz .LBB6_262
; %bb.2:
	v_mul_lo_u32 v0, v14, s3
	s_and_b32 s0, 0xffff, s5
	s_cmp_lt_i32 s0, 11
	v_ashrrev_i32_e32 v1, 31, v0
	v_add_co_u32 v0, vcc_lo, s10, v0
	v_add_co_ci_u32_e64 v1, null, s11, v1, vcc_lo
	s_cbranch_scc1 .LBB6_9
; %bb.3:
	s_cmp_gt_i32 s0, 25
	s_cbranch_scc0 .LBB6_28
; %bb.4:
	s_cmp_gt_i32 s0, 28
	s_cbranch_scc0 .LBB6_31
	;; [unrolled: 3-line block ×4, first 2 shown]
; %bb.7:
	s_cmp_eq_u32 s0, 46
	s_mov_b32 s16, 0
	s_cbranch_scc0 .LBB6_37
; %bb.8:
	global_load_dword v2, v[0:1], off
	s_mov_b32 s7, -1
	s_waitcnt vmcnt(0)
	v_lshlrev_b32_e32 v2, 16, v2
	v_cvt_f64_f32_e32 v[2:3], v2
	s_branch .LBB6_39
.LBB6_9:
                                        ; implicit-def: $vgpr2_vgpr3
	s_cbranch_execnz .LBB6_212
.LBB6_10:
	s_andn2_b32 vcc_lo, exec_lo, s7
	s_cbranch_vccnz .LBB6_259
.LBB6_11:
	v_mov_b32_e32 v0, 0
	v_mov_b32_e32 v1, 0
	s_mov_b32 s7, exec_lo
	s_waitcnt vmcnt(0)
	v_cmpx_neq_f64_e64 0x7ff00000, |v[2:3]|
	s_cbranch_execz .LBB6_21
; %bb.12:
	s_mov_b32 s16, exec_lo
                                        ; implicit-def: $vgpr0_vgpr1
	v_cmpx_nlt_f64_e64 |v[2:3]|, 0.5
	s_xor_b32 s16, exec_lo, s16
	s_cbranch_execz .LBB6_18
; %bb.13:
	v_cmp_ngt_f64_e64 s0, 0x41d00000, |v[2:3]|
                                        ; implicit-def: $vgpr6
                                        ; implicit-def: $vgpr0_vgpr1
                                        ; implicit-def: $vgpr4_vgpr5
	s_and_saveexec_b32 s17, s0
	s_xor_b32 s0, exec_lo, s17
	s_cbranch_execz .LBB6_15
; %bb.14:
	v_ldexp_f64 v[0:1], |v[2:3]|, 0xffffff80
	v_cmp_le_f64_e64 vcc_lo, 0x7b000000, |v[2:3]|
	v_trig_preop_f64 v[4:5], |v[2:3]|, 0
	v_and_b32_e32 v6, 0x7fffffff, v3
	v_trig_preop_f64 v[17:18], |v[2:3]|, 2
	v_mov_b32_e32 v25, 0
	s_mov_b32 s18, 0x54442d18
	s_mov_b32 s19, 0x3ff921fb
	;; [unrolled: 1-line block ×4, first 2 shown]
	v_cndmask_b32_e32 v1, v6, v1, vcc_lo
	v_cndmask_b32_e32 v0, v2, v0, vcc_lo
	v_trig_preop_f64 v[6:7], |v[2:3]|, 1
	v_mul_f64 v[8:9], v[4:5], v[0:1]
	v_mul_f64 v[23:24], v[17:18], v[0:1]
	;; [unrolled: 1-line block ×3, first 2 shown]
	v_fma_f64 v[4:5], v[4:5], v[0:1], -v[8:9]
	v_fma_f64 v[6:7], v[6:7], v[0:1], -v[10:11]
	;; [unrolled: 1-line block ×3, first 2 shown]
	v_add_f64 v[12:13], v[10:11], v[4:5]
	v_add_f64 v[15:16], v[12:13], -v[10:11]
	v_add_f64 v[21:22], v[8:9], v[12:13]
	v_add_f64 v[19:20], v[12:13], -v[15:16]
	v_add_f64 v[4:5], v[4:5], -v[15:16]
	v_ldexp_f64 v[15:16], v[21:22], -2
	v_add_f64 v[8:9], v[21:22], -v[8:9]
	v_add_f64 v[10:11], v[10:11], -v[19:20]
	v_add_f64 v[19:20], v[23:24], v[6:7]
	v_cmp_neq_f64_e64 vcc_lo, 0x7ff00000, |v[15:16]|
	v_add_f64 v[8:9], v[12:13], -v[8:9]
	v_add_f64 v[4:5], v[4:5], v[10:11]
	v_fract_f64_e32 v[10:11], v[15:16]
	v_add_f64 v[12:13], v[19:20], v[4:5]
	v_ldexp_f64 v[10:11], v[10:11], 2
	v_add_f64 v[15:16], v[8:9], v[12:13]
	v_cndmask_b32_e32 v11, 0, v11, vcc_lo
	v_cndmask_b32_e32 v10, 0, v10, vcc_lo
	v_add_f64 v[21:22], v[15:16], v[10:11]
	v_add_f64 v[8:9], v[15:16], -v[8:9]
	v_cmp_gt_f64_e32 vcc_lo, 0, v[21:22]
	v_add_f64 v[21:22], v[19:20], -v[23:24]
	v_cndmask_b32_e64 v26, 0, 0x40100000, vcc_lo
	v_add_f64 v[30:31], v[19:20], -v[21:22]
	v_add_f64 v[6:7], v[6:7], -v[21:22]
	v_add_f64 v[10:11], v[10:11], v[25:26]
	v_add_f64 v[26:27], v[12:13], -v[19:20]
	v_add_f64 v[21:22], v[23:24], -v[30:31]
	v_add_f64 v[28:29], v[15:16], v[10:11]
	;; [unrolled: 3-line block ×3, first 2 shown]
	v_cvt_i32_f64_e32 v28, v[28:29]
	v_add_f64 v[19:20], v[19:20], -v[32:33]
	v_cvt_f64_i32_e32 v[26:27], v28
	v_add_f64 v[4:5], v[4:5], v[19:20]
	v_add_f64 v[10:11], v[10:11], -v[26:27]
	v_add_f64 v[4:5], v[6:7], v[4:5]
	v_add_f64 v[6:7], v[12:13], -v[8:9]
	v_add_f64 v[17:18], v[15:16], v[10:11]
	v_add_f64 v[0:1], v[0:1], v[4:5]
	v_add_f64 v[4:5], v[17:18], -v[10:11]
	v_cmp_le_f64_e32 vcc_lo, 0.5, v[17:18]
	v_add_f64 v[0:1], v[6:7], v[0:1]
	v_add_f64 v[4:5], v[15:16], -v[4:5]
	v_cndmask_b32_e64 v26, 0, 0x3ff00000, vcc_lo
	v_add_co_ci_u32_e64 v6, null, 0, v28, vcc_lo
	v_add_f64 v[0:1], v[0:1], v[4:5]
	v_add_f64 v[4:5], v[17:18], -v[25:26]
	v_add_f64 v[7:8], v[4:5], v[0:1]
	v_mul_f64 v[9:10], v[7:8], s[18:19]
	v_add_f64 v[4:5], v[7:8], -v[4:5]
	v_fma_f64 v[11:12], v[7:8], s[18:19], -v[9:10]
	v_add_f64 v[0:1], v[0:1], -v[4:5]
	v_fma_f64 v[4:5], v[7:8], s[20:21], v[11:12]
	v_fma_f64 v[4:5], v[0:1], s[18:19], v[4:5]
	v_add_f64 v[0:1], v[9:10], v[4:5]
	v_add_f64 v[7:8], v[0:1], -v[9:10]
	v_add_f64 v[4:5], v[4:5], -v[7:8]
.LBB6_15:
	s_andn2_saveexec_b32 s0, s0
	s_cbranch_execz .LBB6_17
; %bb.16:
	s_mov_b32 s18, 0x6dc9c883
	s_mov_b32 s19, 0x3fe45f30
	;; [unrolled: 1-line block ×3, first 2 shown]
	v_mul_f64 v[0:1], |v[2:3]|, s[18:19]
	s_mov_b32 s18, 0x54442d18
	s_mov_b32 s19, 0xbff921fb
	;; [unrolled: 1-line block ×3, first 2 shown]
	v_rndne_f64_e32 v[6:7], v[0:1]
	v_fma_f64 v[0:1], v[6:7], s[18:19], |v[2:3]|
	v_mul_f64 v[4:5], v[6:7], s[20:21]
	s_mov_b32 s18, 0x252049c0
	s_mov_b32 s19, 0xb97b839a
	v_fma_f64 v[10:11], v[6:7], s[20:21], v[0:1]
	v_add_f64 v[8:9], v[0:1], v[4:5]
	s_mov_b32 s21, 0x3c91a626
	v_add_f64 v[0:1], v[0:1], -v[8:9]
	v_add_f64 v[8:9], v[8:9], -v[10:11]
	v_add_f64 v[0:1], v[0:1], v[4:5]
	v_fma_f64 v[4:5], v[6:7], s[20:21], v[4:5]
	v_add_f64 v[0:1], v[8:9], v[0:1]
	v_add_f64 v[0:1], v[0:1], -v[4:5]
	v_fma_f64 v[4:5], v[6:7], s[18:19], v[0:1]
	v_cvt_i32_f64_e32 v6, v[6:7]
	v_add_f64 v[0:1], v[10:11], v[4:5]
	v_add_f64 v[8:9], v[0:1], -v[10:11]
	v_add_f64 v[4:5], v[4:5], -v[8:9]
.LBB6_17:
	s_or_b32 exec_lo, exec_lo, s0
	v_mul_f64 v[7:8], v[0:1], v[0:1]
	s_mov_b32 s18, 0xb42fdfa7
	s_mov_b32 s20, 0xf9a43bb8
	;; [unrolled: 1-line block ×6, first 2 shown]
	v_mul_f64 v[19:20], v[4:5], 0.5
	v_cmp_class_f64_e64 s0, v[2:3], 0x1f8
	v_fma_f64 v[9:10], v[7:8], s[20:21], s[18:19]
	s_mov_b32 s18, 0x9037ab78
	s_mov_b32 s20, 0x46cc5e42
	;; [unrolled: 1-line block ×4, first 2 shown]
	v_mul_f64 v[15:16], v[7:8], 0.5
	v_fma_f64 v[11:12], v[7:8], s[20:21], s[18:19]
	s_mov_b32 s18, 0xa17f65f6
	s_mov_b32 s20, 0x19e83e5c
	;; [unrolled: 1-line block ×4, first 2 shown]
	v_mul_f64 v[21:22], v[0:1], -v[7:8]
	v_fma_f64 v[9:10], v[7:8], v[9:10], s[22:23]
	v_add_f64 v[17:18], -v[15:16], 1.0
	v_fma_f64 v[11:12], v[7:8], v[11:12], s[18:19]
	s_mov_b32 s18, 0x19f4ec90
	s_mov_b32 s19, 0x3efa01a0
	v_fma_f64 v[9:10], v[7:8], v[9:10], s[20:21]
	s_mov_b32 s20, 0x11110bb3
	s_mov_b32 s21, 0x3f811111
	v_add_f64 v[23:24], -v[17:18], 1.0
	v_fma_f64 v[11:12], v[7:8], v[11:12], s[18:19]
	s_mov_b32 s18, 0x16c16967
	s_mov_b32 s19, 0xbf56c16c
	v_fma_f64 v[9:10], v[7:8], v[9:10], s[20:21]
	v_add_f64 v[15:16], v[23:24], -v[15:16]
	v_fma_f64 v[11:12], v[7:8], v[11:12], s[18:19]
	s_mov_b32 s19, 0x3fa55555
	s_mov_b32 s18, 0x55555555
	v_fma_f64 v[9:10], v[21:22], v[9:10], v[19:20]
	v_mul_f64 v[19:20], v[7:8], v[7:8]
	v_fma_f64 v[15:16], v[0:1], -v[4:5], v[15:16]
	v_fma_f64 v[11:12], v[7:8], v[11:12], s[18:19]
	s_mov_b32 s19, 0xbfc55555
	v_fma_f64 v[4:5], v[7:8], v[9:10], -v[4:5]
	v_fma_f64 v[7:8], v[19:20], v[11:12], v[15:16]
	v_fma_f64 v[4:5], v[21:22], s[18:19], v[4:5]
	v_add_f64 v[7:8], v[17:18], v[7:8]
	v_add_f64 v[0:1], v[0:1], -v[4:5]
	v_and_b32_e32 v4, 1, v6
	v_cmp_eq_u32_e32 vcc_lo, 0, v4
	v_lshlrev_b32_e32 v4, 30, v6
	v_xor_b32_e32 v4, v4, v3
	v_and_b32_e32 v4, 0x80000000, v4
	v_cndmask_b32_e32 v1, v8, v1, vcc_lo
	v_cndmask_b32_e32 v0, v7, v0, vcc_lo
	v_xor_b32_e32 v1, v1, v4
	v_cndmask_b32_e64 v0, 0, v0, s0
	v_cndmask_b32_e64 v1, 0x7ff80000, v1, s0
	v_div_scale_f64 v[4:5], null, v[2:3], v[2:3], v[0:1]
	v_rcp_f64_e32 v[6:7], v[4:5]
	v_fma_f64 v[8:9], -v[4:5], v[6:7], 1.0
	v_fma_f64 v[6:7], v[6:7], v[8:9], v[6:7]
	v_fma_f64 v[8:9], -v[4:5], v[6:7], 1.0
	v_fma_f64 v[6:7], v[6:7], v[8:9], v[6:7]
	v_div_scale_f64 v[8:9], vcc_lo, v[0:1], v[2:3], v[0:1]
	v_mul_f64 v[10:11], v[8:9], v[6:7]
	v_fma_f64 v[4:5], -v[4:5], v[10:11], v[8:9]
	v_div_fmas_f64 v[4:5], v[4:5], v[6:7], v[10:11]
	v_div_fixup_f64 v[0:1], v[4:5], v[2:3], v[0:1]
                                        ; implicit-def: $vgpr2_vgpr3
.LBB6_18:
	s_andn2_saveexec_b32 s0, s16
	s_cbranch_execz .LBB6_20
; %bb.19:
	v_mul_f64 v[0:1], v[2:3], v[2:3]
	s_mov_b32 s16, 0x67f544e4
	s_mov_b32 s18, 0x13a86d09
	s_mov_b32 s17, 0xbe5ae645
	s_mov_b32 s19, 0x3de61246
	v_fma_f64 v[2:3], v[0:1], s[18:19], s[16:17]
	s_mov_b32 s16, 0xa556c734
	s_mov_b32 s17, 0x3ec71de3
	v_fma_f64 v[2:3], v[0:1], v[2:3], s[16:17]
	s_mov_b32 s16, 0x1a01a01a
	s_mov_b32 s17, 0xbf2a01a0
	;; [unrolled: 3-line block ×4, first 2 shown]
	v_fma_f64 v[2:3], v[0:1], v[2:3], s[16:17]
	v_fma_f64 v[0:1], v[0:1], v[2:3], 1.0
.LBB6_20:
	s_or_b32 exec_lo, exec_lo, s0
.LBB6_21:
	s_or_b32 exec_lo, exec_lo, s7
	v_mul_lo_u32 v2, v14, s2
	s_and_b32 s7, s1, 0xff
	s_cmp_lt_i32 s7, 11
	v_ashrrev_i32_e32 v3, 31, v2
	v_add_co_u32 v4, vcc_lo, s8, v2
	v_add_co_ci_u32_e64 v5, null, s9, v3, vcc_lo
	s_cbranch_scc1 .LBB6_29
; %bb.22:
	s_and_b32 s16, 0xffff, s7
	s_cmp_gt_i32 s16, 25
	s_cbranch_scc0 .LBB6_32
; %bb.23:
	s_cmp_gt_i32 s16, 28
	s_cbranch_scc0 .LBB6_34
; %bb.24:
	;; [unrolled: 3-line block ×4, first 2 shown]
	s_mov_b32 s18, 0
	s_mov_b32 s0, -1
	s_cmp_eq_u32 s16, 46
	s_mov_b32 s17, 0
	s_cbranch_scc0 .LBB6_43
; %bb.27:
	v_cvt_f32_f64_e32 v2, v[0:1]
	s_mov_b32 s17, -1
	s_mov_b32 s0, 0
	v_bfe_u32 v3, v2, 16, 1
	v_cmp_o_f32_e32 vcc_lo, v2, v2
	v_add3_u32 v2, v2, v3, 0x7fff
	v_mov_b32_e32 v3, 0x7fc0
	v_cndmask_b32_sdwa v2, v3, v2, vcc_lo dst_sel:DWORD dst_unused:UNUSED_PAD src0_sel:DWORD src1_sel:WORD_1
	global_store_dword v[4:5], v2, off
	s_branch .LBB6_43
.LBB6_28:
                                        ; implicit-def: $vgpr2_vgpr3
	s_cbranch_execnz .LBB6_179
	s_branch .LBB6_211
.LBB6_29:
	s_mov_b32 s0, 0
	s_mov_b32 s17, 0
	s_cbranch_execnz .LBB6_112
.LBB6_30:
	s_andn2_b32 vcc_lo, exec_lo, s17
	s_cbranch_vccnz .LBB6_260
	s_branch .LBB6_150
.LBB6_31:
	s_mov_b32 s16, -1
                                        ; implicit-def: $vgpr2_vgpr3
	s_branch .LBB6_158
.LBB6_32:
	s_mov_b32 s18, -1
	s_mov_b32 s0, 0
	s_mov_b32 s17, 0
	s_branch .LBB6_70
.LBB6_33:
	s_mov_b32 s16, -1
                                        ; implicit-def: $vgpr2_vgpr3
	s_branch .LBB6_153
.LBB6_34:
	s_mov_b32 s18, -1
	s_mov_b32 s0, 0
	s_mov_b32 s17, 0
	s_branch .LBB6_53
.LBB6_35:
	s_mov_b32 s16, -1
	s_branch .LBB6_38
.LBB6_36:
	s_mov_b32 s18, -1
	s_mov_b32 s0, 0
	s_mov_b32 s17, 0
	s_branch .LBB6_49
.LBB6_37:
	s_mov_b32 s13, -1
.LBB6_38:
                                        ; implicit-def: $vgpr2_vgpr3
.LBB6_39:
	s_and_b32 vcc_lo, exec_lo, s16
	s_cbranch_vccz .LBB6_152
; %bb.40:
	s_cmp_eq_u32 s0, 44
	s_cbranch_scc0 .LBB6_151
; %bb.41:
	global_load_ubyte v4, v[0:1], off
	s_mov_b32 s13, 0
	s_mov_b32 s7, -1
	s_waitcnt vmcnt(0)
	v_lshlrev_b32_e32 v2, 23, v4
	v_cmp_ne_u32_e32 vcc_lo, 0xff, v4
	v_cvt_f64_f32_e32 v[2:3], v2
	v_cndmask_b32_e32 v2, 0x20000000, v2, vcc_lo
	v_cndmask_b32_e32 v3, 0x7ff80000, v3, vcc_lo
	v_cmp_ne_u32_e32 vcc_lo, 0, v4
	v_cndmask_b32_e32 v3, 0x38000000, v3, vcc_lo
	v_cndmask_b32_e32 v2, 0, v2, vcc_lo
	s_branch .LBB6_152
.LBB6_42:
	s_mov_b32 s18, -1
	s_mov_b32 s0, 0
	s_mov_b32 s17, 0
.LBB6_43:
	s_and_b32 vcc_lo, exec_lo, s18
	s_cbranch_vccz .LBB6_48
; %bb.44:
	s_cmp_eq_u32 s16, 44
	s_mov_b32 s0, -1
	s_cbranch_scc0 .LBB6_48
; %bb.45:
	v_cvt_f32_f64_e32 v2, v[0:1]
	v_mov_b32_e32 v3, 0xff
	s_mov_b32 s17, exec_lo
	v_bfe_u32 v6, v2, 23, 8
	v_cmpx_ne_u32_e32 0xff, v6
	s_cbranch_execz .LBB6_47
; %bb.46:
	v_and_b32_e32 v3, 0x400000, v2
	v_and_or_b32 v6, 0x3fffff, v2, v6
	v_lshrrev_b32_e32 v2, 23, v2
	v_cmp_ne_u32_e32 vcc_lo, 0, v3
	v_cmp_ne_u32_e64 s0, 0, v6
	s_and_b32 s0, vcc_lo, s0
	v_cndmask_b32_e64 v3, 0, 1, s0
	v_add_nc_u32_e32 v3, v2, v3
.LBB6_47:
	s_or_b32 exec_lo, exec_lo, s17
	s_mov_b32 s17, -1
	s_mov_b32 s0, 0
	global_store_byte v[4:5], v3, off
.LBB6_48:
	s_mov_b32 s18, 0
.LBB6_49:
	s_and_b32 vcc_lo, exec_lo, s18
	s_cbranch_vccz .LBB6_52
; %bb.50:
	s_cmp_eq_u32 s16, 29
	s_mov_b32 s0, -1
	s_cbranch_scc0 .LBB6_52
; %bb.51:
	v_trunc_f64_e32 v[2:3], v[0:1]
	s_mov_b32 s17, -1
	s_mov_b32 s0, 0
	s_mov_b32 s18, 0
	v_ldexp_f64 v[6:7], v[2:3], 0xffffffe0
	v_floor_f64_e32 v[6:7], v[6:7]
	v_fma_f64 v[2:3], 0xc1f00000, v[6:7], v[2:3]
	v_cvt_u32_f64_e32 v7, v[6:7]
	v_cvt_u32_f64_e32 v6, v[2:3]
	global_store_dwordx2 v[4:5], v[6:7], off
	s_branch .LBB6_53
.LBB6_52:
	s_mov_b32 s18, 0
.LBB6_53:
	s_and_b32 vcc_lo, exec_lo, s18
	s_cbranch_vccz .LBB6_69
; %bb.54:
	s_cmp_lt_i32 s16, 27
	s_mov_b32 s17, -1
	s_cbranch_scc1 .LBB6_60
; %bb.55:
	v_cvt_u32_f64_e32 v2, v[0:1]
	s_cmp_gt_i32 s16, 27
	s_cbranch_scc0 .LBB6_57
; %bb.56:
	s_mov_b32 s17, 0
	global_store_dword v[4:5], v2, off
.LBB6_57:
	s_andn2_b32 vcc_lo, exec_lo, s17
	s_cbranch_vccnz .LBB6_59
; %bb.58:
	global_store_short v[4:5], v2, off
.LBB6_59:
	s_mov_b32 s17, 0
.LBB6_60:
	s_andn2_b32 vcc_lo, exec_lo, s17
	s_cbranch_vccnz .LBB6_68
; %bb.61:
	v_cvt_f32_f64_e32 v2, v[0:1]
	v_mov_b32_e32 v6, 0x80
	s_mov_b32 s17, exec_lo
	v_and_b32_e32 v3, 0x7fffffff, v2
	v_cmpx_gt_u32_e32 0x43800000, v3
	s_cbranch_execz .LBB6_67
; %bb.62:
	v_cmp_lt_u32_e32 vcc_lo, 0x3bffffff, v3
	s_mov_b32 s18, 0
                                        ; implicit-def: $vgpr3
	s_and_saveexec_b32 s19, vcc_lo
	s_xor_b32 s19, exec_lo, s19
	s_cbranch_execz .LBB6_299
; %bb.63:
	v_bfe_u32 v3, v2, 20, 1
	s_mov_b32 s18, exec_lo
	v_add3_u32 v3, v2, v3, 0x487ffff
	v_lshrrev_b32_e32 v3, 20, v3
	s_andn2_saveexec_b32 s19, s19
	s_cbranch_execnz .LBB6_300
.LBB6_64:
	s_or_b32 exec_lo, exec_lo, s19
	v_mov_b32_e32 v6, 0
	s_and_saveexec_b32 s19, s18
.LBB6_65:
	v_lshrrev_b32_e32 v2, 24, v2
	v_and_or_b32 v6, 0x80, v2, v3
.LBB6_66:
	s_or_b32 exec_lo, exec_lo, s19
.LBB6_67:
	s_or_b32 exec_lo, exec_lo, s17
	global_store_byte v[4:5], v6, off
.LBB6_68:
	s_mov_b32 s17, -1
.LBB6_69:
	s_mov_b32 s18, 0
.LBB6_70:
	s_and_b32 vcc_lo, exec_lo, s18
	s_cbranch_vccz .LBB6_111
; %bb.71:
	s_cmp_gt_i32 s16, 22
	s_mov_b32 s18, -1
	s_cbranch_scc0 .LBB6_103
; %bb.72:
	s_cmp_lt_i32 s16, 24
	s_mov_b32 s17, -1
	s_cbranch_scc1 .LBB6_92
; %bb.73:
	s_cmp_gt_i32 s16, 24
	s_cbranch_scc0 .LBB6_81
; %bb.74:
	v_cvt_f32_f64_e32 v2, v[0:1]
	v_mov_b32_e32 v6, 0x80
	s_mov_b32 s17, exec_lo
	v_and_b32_e32 v3, 0x7fffffff, v2
	v_cmpx_gt_u32_e32 0x47800000, v3
	s_cbranch_execz .LBB6_80
; %bb.75:
	v_cmp_lt_u32_e32 vcc_lo, 0x37ffffff, v3
	s_mov_b32 s18, 0
                                        ; implicit-def: $vgpr3
	s_and_saveexec_b32 s19, vcc_lo
	s_xor_b32 s19, exec_lo, s19
	s_cbranch_execz .LBB6_303
; %bb.76:
	v_bfe_u32 v3, v2, 21, 1
	s_mov_b32 s18, exec_lo
	v_add3_u32 v3, v2, v3, 0x88fffff
	v_lshrrev_b32_e32 v3, 21, v3
	s_andn2_saveexec_b32 s19, s19
	s_cbranch_execnz .LBB6_304
.LBB6_77:
	s_or_b32 exec_lo, exec_lo, s19
	v_mov_b32_e32 v6, 0
	s_and_saveexec_b32 s19, s18
.LBB6_78:
	v_lshrrev_b32_e32 v2, 24, v2
	v_and_or_b32 v6, 0x80, v2, v3
.LBB6_79:
	s_or_b32 exec_lo, exec_lo, s19
.LBB6_80:
	s_or_b32 exec_lo, exec_lo, s17
	s_mov_b32 s17, 0
	global_store_byte v[4:5], v6, off
.LBB6_81:
	s_and_b32 vcc_lo, exec_lo, s17
	s_cbranch_vccz .LBB6_91
; %bb.82:
	v_cvt_f32_f64_e32 v2, v[0:1]
	s_mov_b32 s17, exec_lo
                                        ; implicit-def: $vgpr3
	v_and_b32_e32 v6, 0x7fffffff, v2
	v_cmpx_gt_u32_e32 0x43f00000, v6
	s_xor_b32 s17, exec_lo, s17
	s_cbranch_execz .LBB6_88
; %bb.83:
	s_mov_b32 s18, exec_lo
                                        ; implicit-def: $vgpr3
	v_cmpx_lt_u32_e32 0x3c7fffff, v6
	s_xor_b32 s18, exec_lo, s18
; %bb.84:
	v_bfe_u32 v3, v2, 20, 1
	v_add3_u32 v3, v2, v3, 0x407ffff
	v_and_b32_e32 v6, 0xff00000, v3
	v_lshrrev_b32_e32 v3, 20, v3
	v_cmp_ne_u32_e32 vcc_lo, 0x7f00000, v6
	v_cndmask_b32_e32 v3, 0x7e, v3, vcc_lo
; %bb.85:
	s_andn2_saveexec_b32 s18, s18
; %bb.86:
	v_add_f32_e64 v3, 0x46800000, |v2|
; %bb.87:
	s_or_b32 exec_lo, exec_lo, s18
                                        ; implicit-def: $vgpr6
.LBB6_88:
	s_andn2_saveexec_b32 s17, s17
; %bb.89:
	v_mov_b32_e32 v3, 0x7f
	v_cmp_lt_u32_e32 vcc_lo, 0x7f800000, v6
	v_cndmask_b32_e32 v3, 0x7e, v3, vcc_lo
; %bb.90:
	s_or_b32 exec_lo, exec_lo, s17
	v_lshrrev_b32_e32 v2, 24, v2
	v_and_or_b32 v2, 0x80, v2, v3
	global_store_byte v[4:5], v2, off
.LBB6_91:
	s_mov_b32 s17, 0
.LBB6_92:
	s_andn2_b32 vcc_lo, exec_lo, s17
	s_cbranch_vccnz .LBB6_102
; %bb.93:
	v_cvt_f32_f64_e32 v2, v[0:1]
	s_mov_b32 s17, exec_lo
                                        ; implicit-def: $vgpr3
	v_and_b32_e32 v6, 0x7fffffff, v2
	v_cmpx_gt_u32_e32 0x47800000, v6
	s_xor_b32 s17, exec_lo, s17
	s_cbranch_execz .LBB6_99
; %bb.94:
	s_mov_b32 s18, exec_lo
                                        ; implicit-def: $vgpr3
	v_cmpx_lt_u32_e32 0x387fffff, v6
	s_xor_b32 s18, exec_lo, s18
; %bb.95:
	v_bfe_u32 v3, v2, 21, 1
	v_add3_u32 v3, v2, v3, 0x80fffff
	v_lshrrev_b32_e32 v3, 21, v3
; %bb.96:
	s_andn2_saveexec_b32 s18, s18
; %bb.97:
	v_add_f32_e64 v3, 0x43000000, |v2|
; %bb.98:
	s_or_b32 exec_lo, exec_lo, s18
                                        ; implicit-def: $vgpr6
.LBB6_99:
	s_andn2_saveexec_b32 s17, s17
; %bb.100:
	v_mov_b32_e32 v3, 0x7f
	v_cmp_lt_u32_e32 vcc_lo, 0x7f800000, v6
	v_cndmask_b32_e32 v3, 0x7c, v3, vcc_lo
; %bb.101:
	s_or_b32 exec_lo, exec_lo, s17
	v_lshrrev_b32_e32 v2, 24, v2
	v_and_or_b32 v2, 0x80, v2, v3
	global_store_byte v[4:5], v2, off
.LBB6_102:
	s_mov_b32 s18, 0
	s_mov_b32 s17, -1
.LBB6_103:
	s_andn2_b32 vcc_lo, exec_lo, s18
	s_cbranch_vccnz .LBB6_111
; %bb.104:
	s_cmp_gt_i32 s16, 14
	s_mov_b32 s18, -1
	s_cbranch_scc0 .LBB6_108
; %bb.105:
	s_cmp_eq_u32 s16, 15
	s_mov_b32 s0, -1
	s_cbranch_scc0 .LBB6_107
; %bb.106:
	v_cvt_f32_f64_e32 v2, v[0:1]
	s_mov_b32 s17, -1
	s_mov_b32 s0, 0
	v_bfe_u32 v3, v2, 16, 1
	v_cmp_o_f32_e32 vcc_lo, v2, v2
	v_add3_u32 v2, v2, v3, 0x7fff
	v_mov_b32_e32 v3, 0x7fc0
	v_cndmask_b32_sdwa v2, v3, v2, vcc_lo dst_sel:DWORD dst_unused:UNUSED_PAD src0_sel:DWORD src1_sel:WORD_1
	global_store_short v[4:5], v2, off
.LBB6_107:
	s_mov_b32 s18, 0
.LBB6_108:
	s_and_b32 vcc_lo, exec_lo, s18
	s_cbranch_vccz .LBB6_111
; %bb.109:
	s_cmp_eq_u32 s16, 11
	s_mov_b32 s0, -1
	s_cbranch_scc0 .LBB6_111
; %bb.110:
	v_cmp_neq_f64_e32 vcc_lo, 0, v[0:1]
	s_mov_b32 s17, -1
	s_mov_b32 s0, 0
	v_cndmask_b32_e64 v2, 0, 1, vcc_lo
	global_store_byte v[4:5], v2, off
.LBB6_111:
	s_branch .LBB6_30
.LBB6_112:
	s_and_b32 s7, 0xffff, s7
	s_mov_b32 s16, -1
	s_cmp_lt_i32 s7, 5
	s_cbranch_scc1 .LBB6_133
; %bb.113:
	s_cmp_lt_i32 s7, 8
	s_cbranch_scc1 .LBB6_123
; %bb.114:
	;; [unrolled: 3-line block ×3, first 2 shown]
	s_cmp_gt_i32 s7, 9
	s_cbranch_scc0 .LBB6_117
; %bb.116:
	v_mov_b32_e32 v2, 0
	s_mov_b32 s16, 0
	v_mov_b32_e32 v3, v2
	global_store_dwordx4 v[4:5], v[0:3], off
.LBB6_117:
	s_andn2_b32 vcc_lo, exec_lo, s16
	s_cbranch_vccnz .LBB6_119
; %bb.118:
	v_cvt_f32_f64_e32 v2, v[0:1]
	v_mov_b32_e32 v3, 0
	global_store_dwordx2 v[4:5], v[2:3], off
.LBB6_119:
	s_mov_b32 s16, 0
.LBB6_120:
	s_andn2_b32 vcc_lo, exec_lo, s16
	s_cbranch_vccnz .LBB6_122
; %bb.121:
	v_and_or_b32 v2, 0x1ff, v1, v0
	v_lshrrev_b32_e32 v3, 8, v1
	v_bfe_u32 v6, v1, 20, 11
	v_cmp_ne_u32_e32 vcc_lo, 0, v2
	v_sub_nc_u32_e32 v7, 0x3f1, v6
	v_add_nc_u32_e32 v6, 0xfffffc10, v6
	v_cndmask_b32_e64 v2, 0, 1, vcc_lo
	v_and_or_b32 v2, 0xffe, v3, v2
	v_med3_i32 v3, v7, 0, 13
	v_or_b32_e32 v7, 0x1000, v2
	v_lshrrev_b32_e32 v8, v3, v7
	v_lshlrev_b32_e32 v3, v3, v8
	v_cmp_ne_u32_e32 vcc_lo, v3, v7
	v_lshl_or_b32 v7, v6, 12, v2
	v_cndmask_b32_e64 v3, 0, 1, vcc_lo
	v_cmp_gt_i32_e32 vcc_lo, 1, v6
	v_or_b32_e32 v3, v8, v3
	v_cndmask_b32_e32 v3, v7, v3, vcc_lo
	v_and_b32_e32 v7, 7, v3
	v_lshrrev_b32_e32 v3, 2, v3
	v_cmp_lt_i32_e32 vcc_lo, 5, v7
	v_cndmask_b32_e64 v8, 0, 1, vcc_lo
	v_cmp_eq_u32_e32 vcc_lo, 3, v7
	v_cndmask_b32_e64 v7, 0, 1, vcc_lo
	v_cmp_ne_u32_e32 vcc_lo, 0, v2
	v_or_b32_e32 v7, v7, v8
	v_mov_b32_e32 v8, 0x7e00
	v_add_nc_u32_e32 v3, v3, v7
	v_cndmask_b32_e32 v2, 0x7c00, v8, vcc_lo
	v_cmp_gt_i32_e32 vcc_lo, 31, v6
	v_cndmask_b32_e32 v3, 0x7c00, v3, vcc_lo
	v_cmp_eq_u32_e32 vcc_lo, 0x40f, v6
	v_cndmask_b32_e32 v2, v3, v2, vcc_lo
	v_lshrrev_b32_e32 v3, 16, v1
	v_and_or_b32 v2, 0x8000, v3, v2
	v_and_b32_e32 v2, 0xffff, v2
	global_store_dword v[4:5], v2, off
.LBB6_122:
	s_mov_b32 s16, 0
.LBB6_123:
	s_andn2_b32 vcc_lo, exec_lo, s16
	s_cbranch_vccnz .LBB6_132
; %bb.124:
	s_cmp_lt_i32 s7, 6
	s_mov_b32 s16, -1
	s_cbranch_scc1 .LBB6_130
; %bb.125:
	s_cmp_gt_i32 s7, 6
	s_cbranch_scc0 .LBB6_127
; %bb.126:
	s_mov_b32 s16, 0
	global_store_dwordx2 v[4:5], v[0:1], off
.LBB6_127:
	s_andn2_b32 vcc_lo, exec_lo, s16
	s_cbranch_vccnz .LBB6_129
; %bb.128:
	v_cvt_f32_f64_e32 v2, v[0:1]
	global_store_dword v[4:5], v2, off
.LBB6_129:
	s_mov_b32 s16, 0
.LBB6_130:
	s_andn2_b32 vcc_lo, exec_lo, s16
	s_cbranch_vccnz .LBB6_132
; %bb.131:
	v_and_or_b32 v2, 0x1ff, v1, v0
	v_lshrrev_b32_e32 v3, 8, v1
	v_bfe_u32 v6, v1, 20, 11
	v_cmp_ne_u32_e32 vcc_lo, 0, v2
	v_sub_nc_u32_e32 v7, 0x3f1, v6
	v_add_nc_u32_e32 v6, 0xfffffc10, v6
	v_cndmask_b32_e64 v2, 0, 1, vcc_lo
	v_and_or_b32 v2, 0xffe, v3, v2
	v_med3_i32 v3, v7, 0, 13
	v_or_b32_e32 v7, 0x1000, v2
	v_lshrrev_b32_e32 v8, v3, v7
	v_lshlrev_b32_e32 v3, v3, v8
	v_cmp_ne_u32_e32 vcc_lo, v3, v7
	v_lshl_or_b32 v7, v6, 12, v2
	v_cndmask_b32_e64 v3, 0, 1, vcc_lo
	v_cmp_gt_i32_e32 vcc_lo, 1, v6
	v_or_b32_e32 v3, v8, v3
	v_cndmask_b32_e32 v3, v7, v3, vcc_lo
	v_and_b32_e32 v7, 7, v3
	v_lshrrev_b32_e32 v3, 2, v3
	v_cmp_lt_i32_e32 vcc_lo, 5, v7
	v_cndmask_b32_e64 v8, 0, 1, vcc_lo
	v_cmp_eq_u32_e32 vcc_lo, 3, v7
	v_cndmask_b32_e64 v7, 0, 1, vcc_lo
	v_cmp_ne_u32_e32 vcc_lo, 0, v2
	v_or_b32_e32 v7, v7, v8
	v_mov_b32_e32 v8, 0x7e00
	v_add_nc_u32_e32 v3, v3, v7
	v_cndmask_b32_e32 v2, 0x7c00, v8, vcc_lo
	v_cmp_gt_i32_e32 vcc_lo, 31, v6
	v_cndmask_b32_e32 v3, 0x7c00, v3, vcc_lo
	v_cmp_eq_u32_e32 vcc_lo, 0x40f, v6
	v_cndmask_b32_e32 v2, v3, v2, vcc_lo
	v_lshrrev_b32_e32 v3, 16, v1
	v_and_or_b32 v2, 0x8000, v3, v2
	global_store_short v[4:5], v2, off
.LBB6_132:
	s_mov_b32 s16, 0
.LBB6_133:
	s_andn2_b32 vcc_lo, exec_lo, s16
	s_cbranch_vccnz .LBB6_149
; %bb.134:
	s_cmp_lt_i32 s7, 2
	s_mov_b32 s16, -1
	s_cbranch_scc1 .LBB6_144
; %bb.135:
	s_cmp_lt_i32 s7, 3
	s_cbranch_scc1 .LBB6_141
; %bb.136:
	s_cmp_gt_i32 s7, 3
	s_cbranch_scc0 .LBB6_138
; %bb.137:
	v_trunc_f64_e32 v[2:3], v[0:1]
	s_mov_b32 s16, 0
	v_ldexp_f64 v[6:7], v[2:3], 0xffffffe0
	v_floor_f64_e32 v[6:7], v[6:7]
	v_fma_f64 v[2:3], 0xc1f00000, v[6:7], v[2:3]
	v_cvt_i32_f64_e32 v7, v[6:7]
	v_cvt_u32_f64_e32 v6, v[2:3]
	global_store_dwordx2 v[4:5], v[6:7], off
.LBB6_138:
	s_andn2_b32 vcc_lo, exec_lo, s16
	s_cbranch_vccnz .LBB6_140
; %bb.139:
	v_cvt_i32_f64_e32 v2, v[0:1]
	global_store_dword v[4:5], v2, off
.LBB6_140:
	s_mov_b32 s16, 0
.LBB6_141:
	s_andn2_b32 vcc_lo, exec_lo, s16
	s_cbranch_vccnz .LBB6_143
; %bb.142:
	v_cvt_i32_f64_e32 v2, v[0:1]
	global_store_short v[4:5], v2, off
.LBB6_143:
	s_mov_b32 s16, 0
.LBB6_144:
	s_andn2_b32 vcc_lo, exec_lo, s16
	s_cbranch_vccnz .LBB6_149
; %bb.145:
	s_cmp_gt_i32 s7, 0
	s_mov_b32 s7, -1
	s_cbranch_scc0 .LBB6_147
; %bb.146:
	v_cvt_i32_f64_e32 v2, v[0:1]
	s_mov_b32 s7, 0
	global_store_byte v[4:5], v2, off
.LBB6_147:
	s_andn2_b32 vcc_lo, exec_lo, s7
	s_cbranch_vccnz .LBB6_149
; %bb.148:
	v_trunc_f64_e32 v[0:1], v[0:1]
	v_ldexp_f64 v[2:3], v[0:1], 0xffffffe0
	v_floor_f64_e32 v[2:3], v[2:3]
	v_fma_f64 v[0:1], 0xc1f00000, v[2:3], v[0:1]
	v_cvt_u32_f64_e32 v0, v[0:1]
	global_store_byte v[4:5], v0, off
.LBB6_149:
.LBB6_150:
	v_add_nc_u32_e32 v14, 0x80, v14
	s_mov_b32 s16, -1
	s_branch .LBB6_261
.LBB6_151:
	s_mov_b32 s13, -1
                                        ; implicit-def: $vgpr2_vgpr3
.LBB6_152:
	s_mov_b32 s16, 0
.LBB6_153:
	s_and_b32 vcc_lo, exec_lo, s16
	s_cbranch_vccz .LBB6_157
; %bb.154:
	s_cmp_eq_u32 s0, 29
	s_cbranch_scc0 .LBB6_156
; %bb.155:
	global_load_dwordx2 v[2:3], v[0:1], off
	s_mov_b32 s7, -1
	s_mov_b32 s13, 0
	s_mov_b32 s16, 0
	s_waitcnt vmcnt(0)
	v_cvt_f64_u32_e32 v[3:4], v3
	v_cvt_f64_u32_e32 v[5:6], v2
	v_ldexp_f64 v[3:4], v[3:4], 32
	v_add_f64 v[2:3], v[3:4], v[5:6]
	s_branch .LBB6_158
.LBB6_156:
	s_mov_b32 s13, -1
                                        ; implicit-def: $vgpr2_vgpr3
.LBB6_157:
	s_mov_b32 s16, 0
.LBB6_158:
	s_and_b32 vcc_lo, exec_lo, s16
	s_cbranch_vccz .LBB6_178
; %bb.159:
	s_cmp_lt_i32 s0, 27
	s_cbranch_scc1 .LBB6_162
; %bb.160:
	s_cmp_gt_i32 s0, 27
	s_cbranch_scc0 .LBB6_163
; %bb.161:
	global_load_dword v2, v[0:1], off
	s_mov_b32 s7, 0
	s_waitcnt vmcnt(0)
	v_cvt_f64_u32_e32 v[2:3], v2
	s_branch .LBB6_164
.LBB6_162:
	s_mov_b32 s7, -1
                                        ; implicit-def: $vgpr2_vgpr3
	s_branch .LBB6_167
.LBB6_163:
	s_mov_b32 s7, -1
                                        ; implicit-def: $vgpr2_vgpr3
.LBB6_164:
	s_andn2_b32 vcc_lo, exec_lo, s7
	s_cbranch_vccnz .LBB6_166
; %bb.165:
	global_load_ushort v2, v[0:1], off
	s_waitcnt vmcnt(0)
	v_cvt_f64_u32_e32 v[2:3], v2
.LBB6_166:
	s_mov_b32 s7, 0
.LBB6_167:
	s_andn2_b32 vcc_lo, exec_lo, s7
	s_cbranch_vccnz .LBB6_177
; %bb.168:
	global_load_ubyte v4, v[0:1], off
	s_mov_b32 s7, 0
	s_mov_b32 s16, exec_lo
	s_waitcnt vmcnt(0)
	v_cmpx_lt_i16_e32 0x7f, v4
	s_xor_b32 s16, exec_lo, s16
	s_cbranch_execz .LBB6_172
; %bb.169:
	s_mov_b32 s7, -1
	s_mov_b32 s17, exec_lo
	v_cmpx_eq_u16_e32 0x80, v4
; %bb.170:
	s_xor_b32 s7, exec_lo, -1
; %bb.171:
	s_or_b32 exec_lo, exec_lo, s17
	s_and_b32 s7, s7, exec_lo
.LBB6_172:
	s_or_saveexec_b32 s16, s16
	v_bfrev_b32_e32 v2, 4
	v_mov_b32_e32 v3, 0x7ff80000
	s_xor_b32 exec_lo, exec_lo, s16
; %bb.173:
	v_cmp_ne_u16_e32 vcc_lo, 0, v4
	v_mov_b32_e32 v2, 0
	v_mov_b32_e32 v3, 0
	s_andn2_b32 s7, s7, exec_lo
	s_and_b32 s17, vcc_lo, exec_lo
	s_or_b32 s7, s7, s17
; %bb.174:
	s_or_b32 exec_lo, exec_lo, s16
	s_and_saveexec_b32 s16, s7
	s_cbranch_execz .LBB6_176
; %bb.175:
	v_and_b32_e32 v2, 0xffff, v4
	v_lshlrev_b32_e32 v4, 24, v4
	v_and_b32_e32 v3, 7, v2
	v_bfe_u32 v7, v2, 3, 4
	v_ffbh_u32_e32 v5, v3
	v_cmp_eq_u32_e32 vcc_lo, 0, v7
	v_min_u32_e32 v5, 32, v5
	v_subrev_nc_u32_e32 v6, 28, v5
	v_sub_nc_u32_e32 v5, 29, v5
	v_lshlrev_b32_e32 v2, v6, v2
	v_cndmask_b32_e32 v5, v7, v5, vcc_lo
	v_and_b32_e32 v2, 7, v2
	v_cndmask_b32_e32 v2, v3, v2, vcc_lo
	v_and_b32_e32 v3, 0x80000000, v4
	v_lshl_add_u32 v4, v5, 23, 0x3b800000
	v_lshlrev_b32_e32 v2, 20, v2
	v_or3_b32 v2, v3, v4, v2
	v_cvt_f64_f32_e32 v[2:3], v2
.LBB6_176:
	s_or_b32 exec_lo, exec_lo, s16
.LBB6_177:
	s_mov_b32 s7, -1
.LBB6_178:
	s_branch .LBB6_211
.LBB6_179:
	s_cmp_gt_i32 s0, 22
	s_cbranch_scc0 .LBB6_191
; %bb.180:
	s_cmp_lt_i32 s0, 24
	s_cbranch_scc1 .LBB6_192
; %bb.181:
	s_cmp_gt_i32 s0, 24
	s_cbranch_scc0 .LBB6_193
; %bb.182:
	global_load_ubyte v4, v[0:1], off
	s_mov_b32 s7, 0
	s_mov_b32 s16, exec_lo
	s_waitcnt vmcnt(0)
	v_cmpx_lt_i16_e32 0x7f, v4
	s_xor_b32 s16, exec_lo, s16
	s_cbranch_execz .LBB6_186
; %bb.183:
	s_mov_b32 s7, -1
	s_mov_b32 s17, exec_lo
	v_cmpx_eq_u16_e32 0x80, v4
; %bb.184:
	s_xor_b32 s7, exec_lo, -1
; %bb.185:
	s_or_b32 exec_lo, exec_lo, s17
	s_and_b32 s7, s7, exec_lo
.LBB6_186:
	s_or_saveexec_b32 s16, s16
	v_bfrev_b32_e32 v2, 4
	v_mov_b32_e32 v3, 0x7ff80000
	s_xor_b32 exec_lo, exec_lo, s16
; %bb.187:
	v_cmp_ne_u16_e32 vcc_lo, 0, v4
	v_mov_b32_e32 v2, 0
	v_mov_b32_e32 v3, 0
	s_andn2_b32 s7, s7, exec_lo
	s_and_b32 s17, vcc_lo, exec_lo
	s_or_b32 s7, s7, s17
; %bb.188:
	s_or_b32 exec_lo, exec_lo, s16
	s_and_saveexec_b32 s16, s7
	s_cbranch_execz .LBB6_190
; %bb.189:
	v_and_b32_e32 v2, 0xffff, v4
	v_lshlrev_b32_e32 v4, 24, v4
	v_and_b32_e32 v3, 3, v2
	v_bfe_u32 v7, v2, 2, 5
	v_ffbh_u32_e32 v5, v3
	v_cmp_eq_u32_e32 vcc_lo, 0, v7
	v_min_u32_e32 v5, 32, v5
	v_subrev_nc_u32_e32 v6, 29, v5
	v_sub_nc_u32_e32 v5, 30, v5
	v_lshlrev_b32_e32 v2, v6, v2
	v_cndmask_b32_e32 v5, v7, v5, vcc_lo
	v_and_b32_e32 v2, 3, v2
	v_cndmask_b32_e32 v2, v3, v2, vcc_lo
	v_and_b32_e32 v3, 0x80000000, v4
	v_lshl_add_u32 v4, v5, 23, 0x37800000
	v_lshlrev_b32_e32 v2, 21, v2
	v_or3_b32 v2, v3, v4, v2
	v_cvt_f64_f32_e32 v[2:3], v2
.LBB6_190:
	s_or_b32 exec_lo, exec_lo, s16
	s_mov_b32 s7, 0
	s_branch .LBB6_194
.LBB6_191:
	s_mov_b32 s16, -1
                                        ; implicit-def: $vgpr2_vgpr3
	s_branch .LBB6_200
.LBB6_192:
	s_mov_b32 s7, -1
                                        ; implicit-def: $vgpr2_vgpr3
	s_branch .LBB6_197
.LBB6_193:
	s_mov_b32 s7, -1
                                        ; implicit-def: $vgpr2_vgpr3
.LBB6_194:
	s_and_b32 vcc_lo, exec_lo, s7
	s_cbranch_vccz .LBB6_196
; %bb.195:
	global_load_ubyte v2, v[0:1], off
	s_waitcnt vmcnt(0)
	v_lshlrev_b32_e32 v2, 24, v2
	v_and_b32_e32 v3, 0x7f000000, v2
	v_ffbh_u32_e32 v4, v3
	v_add_nc_u32_e32 v6, 0x1000000, v3
	v_cmp_ne_u32_e32 vcc_lo, 0, v3
	v_min_u32_e32 v4, 32, v4
	v_sub_nc_u32_e64 v4, v4, 4 clamp
	v_lshlrev_b32_e32 v5, v4, v3
	v_lshlrev_b32_e32 v4, 23, v4
	v_lshrrev_b32_e32 v5, 4, v5
	v_sub_nc_u32_e32 v4, v5, v4
	v_ashrrev_i32_e32 v5, 8, v6
	v_add_nc_u32_e32 v4, 0x3c000000, v4
	v_and_or_b32 v4, 0x7f800000, v5, v4
	v_cndmask_b32_e32 v3, 0, v4, vcc_lo
	v_and_or_b32 v2, 0x80000000, v2, v3
	v_cvt_f64_f32_e32 v[2:3], v2
.LBB6_196:
	s_mov_b32 s7, 0
.LBB6_197:
	s_andn2_b32 vcc_lo, exec_lo, s7
	s_cbranch_vccnz .LBB6_199
; %bb.198:
	global_load_ubyte v2, v[0:1], off
	s_waitcnt vmcnt(0)
	v_lshlrev_b32_e32 v3, 25, v2
	v_lshlrev_b16 v2, 8, v2
	v_lshrrev_b32_e32 v4, 4, v3
	v_and_or_b32 v5, 0x7f00, v2, 0.5
	v_cmp_gt_u32_e32 vcc_lo, 0x8000000, v3
	v_bfe_i32 v2, v2, 0, 16
	v_or_b32_e32 v4, 0x70000000, v4
	v_add_f32_e32 v5, -0.5, v5
	v_mul_f32_e32 v4, 0x7800000, v4
	v_cndmask_b32_e32 v3, v4, v5, vcc_lo
	v_and_or_b32 v2, 0x80000000, v2, v3
	v_cvt_f64_f32_e32 v[2:3], v2
.LBB6_199:
	s_mov_b32 s16, 0
	s_mov_b32 s7, -1
.LBB6_200:
	s_andn2_b32 vcc_lo, exec_lo, s16
	s_cbranch_vccnz .LBB6_211
; %bb.201:
	s_cmp_gt_i32 s0, 14
	s_cbranch_scc0 .LBB6_204
; %bb.202:
	s_cmp_eq_u32 s0, 15
	s_cbranch_scc0 .LBB6_205
; %bb.203:
	global_load_ushort v2, v[0:1], off
	s_mov_b32 s7, -1
	s_mov_b32 s13, 0
	s_waitcnt vmcnt(0)
	v_lshlrev_b32_e32 v2, 16, v2
	v_cvt_f64_f32_e32 v[2:3], v2
	s_branch .LBB6_206
.LBB6_204:
	s_mov_b32 s16, -1
                                        ; implicit-def: $vgpr2_vgpr3
	s_branch .LBB6_207
.LBB6_205:
	s_mov_b32 s13, -1
                                        ; implicit-def: $vgpr2_vgpr3
.LBB6_206:
	s_mov_b32 s16, 0
.LBB6_207:
	s_and_b32 vcc_lo, exec_lo, s16
	s_cbranch_vccz .LBB6_211
; %bb.208:
	s_cmp_eq_u32 s0, 11
	s_cbranch_scc0 .LBB6_210
; %bb.209:
	global_load_ubyte v2, v[0:1], off
	s_mov_b32 s13, 0
	s_mov_b32 s7, -1
	s_waitcnt vmcnt(0)
	v_cmp_ne_u16_e32 vcc_lo, 0, v2
	v_mov_b32_e32 v2, 0
	v_cndmask_b32_e64 v3, 0, 0x3ff00000, vcc_lo
	s_branch .LBB6_211
.LBB6_210:
	s_mov_b32 s13, -1
                                        ; implicit-def: $vgpr2_vgpr3
.LBB6_211:
	s_branch .LBB6_10
.LBB6_212:
	s_cmp_lt_i32 s0, 5
	s_cbranch_scc1 .LBB6_217
; %bb.213:
	s_cmp_lt_i32 s0, 8
	s_cbranch_scc1 .LBB6_218
; %bb.214:
	;; [unrolled: 3-line block ×3, first 2 shown]
	s_cmp_gt_i32 s0, 9
	s_cbranch_scc0 .LBB6_220
; %bb.216:
	global_load_dwordx2 v[2:3], v[0:1], off
	s_mov_b32 s7, 0
	s_branch .LBB6_221
.LBB6_217:
                                        ; implicit-def: $vgpr2_vgpr3
	s_branch .LBB6_239
.LBB6_218:
	s_mov_b32 s7, -1
                                        ; implicit-def: $vgpr2_vgpr3
	s_branch .LBB6_227
.LBB6_219:
	s_mov_b32 s7, -1
                                        ; implicit-def: $vgpr2_vgpr3
	s_branch .LBB6_224
.LBB6_220:
	s_mov_b32 s7, -1
                                        ; implicit-def: $vgpr2_vgpr3
.LBB6_221:
	s_andn2_b32 vcc_lo, exec_lo, s7
	s_cbranch_vccnz .LBB6_223
; %bb.222:
	global_load_dword v2, v[0:1], off
	s_waitcnt vmcnt(0)
	v_cvt_f64_f32_e32 v[2:3], v2
.LBB6_223:
	s_mov_b32 s7, 0
.LBB6_224:
	s_andn2_b32 vcc_lo, exec_lo, s7
	s_cbranch_vccnz .LBB6_226
; %bb.225:
	global_load_dword v2, v[0:1], off
	s_waitcnt vmcnt(0)
	v_cvt_f32_f16_e32 v2, v2
	v_cvt_f64_f32_e32 v[2:3], v2
.LBB6_226:
	s_mov_b32 s7, 0
.LBB6_227:
	s_andn2_b32 vcc_lo, exec_lo, s7
	s_cbranch_vccnz .LBB6_238
; %bb.228:
	s_cmp_lt_i32 s0, 6
	s_cbranch_scc1 .LBB6_231
; %bb.229:
	s_cmp_gt_i32 s0, 6
	s_cbranch_scc0 .LBB6_232
; %bb.230:
	global_load_dwordx2 v[2:3], v[0:1], off
	s_mov_b32 s7, 0
	s_branch .LBB6_233
.LBB6_231:
	s_mov_b32 s7, -1
                                        ; implicit-def: $vgpr2_vgpr3
	s_branch .LBB6_236
.LBB6_232:
	s_mov_b32 s7, -1
                                        ; implicit-def: $vgpr2_vgpr3
.LBB6_233:
	s_andn2_b32 vcc_lo, exec_lo, s7
	s_cbranch_vccnz .LBB6_235
; %bb.234:
	global_load_dword v2, v[0:1], off
	s_waitcnt vmcnt(0)
	v_cvt_f64_f32_e32 v[2:3], v2
.LBB6_235:
	s_mov_b32 s7, 0
.LBB6_236:
	s_andn2_b32 vcc_lo, exec_lo, s7
	s_cbranch_vccnz .LBB6_238
; %bb.237:
	global_load_ushort v2, v[0:1], off
	s_waitcnt vmcnt(0)
	v_cvt_f32_f16_e32 v2, v2
	v_cvt_f64_f32_e32 v[2:3], v2
.LBB6_238:
	s_cbranch_execnz .LBB6_258
.LBB6_239:
	s_cmp_lt_i32 s0, 2
	s_cbranch_scc1 .LBB6_243
; %bb.240:
	s_cmp_lt_i32 s0, 3
	s_cbranch_scc1 .LBB6_244
; %bb.241:
	s_cmp_gt_i32 s0, 3
	s_cbranch_scc0 .LBB6_245
; %bb.242:
	global_load_dwordx2 v[2:3], v[0:1], off
	s_mov_b32 s7, 0
	s_waitcnt vmcnt(0)
	v_cvt_f64_i32_e32 v[3:4], v3
	v_cvt_f64_u32_e32 v[5:6], v2
	v_ldexp_f64 v[3:4], v[3:4], 32
	v_add_f64 v[2:3], v[3:4], v[5:6]
	s_branch .LBB6_246
.LBB6_243:
	s_mov_b32 s7, -1
                                        ; implicit-def: $vgpr2_vgpr3
	s_branch .LBB6_252
.LBB6_244:
	s_mov_b32 s7, -1
                                        ; implicit-def: $vgpr2_vgpr3
	s_branch .LBB6_249
.LBB6_245:
	s_mov_b32 s7, -1
                                        ; implicit-def: $vgpr2_vgpr3
.LBB6_246:
	s_andn2_b32 vcc_lo, exec_lo, s7
	s_cbranch_vccnz .LBB6_248
; %bb.247:
	global_load_dword v2, v[0:1], off
	s_waitcnt vmcnt(0)
	v_cvt_f64_i32_e32 v[2:3], v2
.LBB6_248:
	s_mov_b32 s7, 0
.LBB6_249:
	s_andn2_b32 vcc_lo, exec_lo, s7
	s_cbranch_vccnz .LBB6_251
; %bb.250:
	global_load_sshort v2, v[0:1], off
	s_waitcnt vmcnt(0)
	v_cvt_f64_i32_e32 v[2:3], v2
.LBB6_251:
	s_mov_b32 s7, 0
.LBB6_252:
	s_andn2_b32 vcc_lo, exec_lo, s7
	s_cbranch_vccnz .LBB6_258
; %bb.253:
	s_cmp_gt_i32 s0, 0
	s_mov_b32 s0, 0
	s_cbranch_scc0 .LBB6_255
; %bb.254:
	global_load_sbyte v2, v[0:1], off
	s_waitcnt vmcnt(0)
	v_cvt_f64_i32_e32 v[2:3], v2
	s_branch .LBB6_256
.LBB6_255:
	s_mov_b32 s0, -1
                                        ; implicit-def: $vgpr2_vgpr3
.LBB6_256:
	s_andn2_b32 vcc_lo, exec_lo, s0
	s_cbranch_vccnz .LBB6_258
; %bb.257:
	global_load_ubyte v0, v[0:1], off
	s_waitcnt vmcnt(0)
	v_cvt_f64_u32_e32 v[2:3], v0
.LBB6_258:
	s_branch .LBB6_11
.LBB6_259:
	s_mov_b32 s0, 0
.LBB6_260:
	s_mov_b32 s16, 0
                                        ; implicit-def: $vgpr14
.LBB6_261:
	s_and_b32 s7, s0, exec_lo
	s_and_b32 s13, s13, exec_lo
	s_orn2_b32 s17, s16, exec_lo
.LBB6_262:
	s_or_b32 exec_lo, exec_lo, s14
	s_mov_b32 s16, 0
	s_mov_b32 s0, 0
                                        ; implicit-def: $vgpr0_vgpr1
                                        ; implicit-def: $vgpr2_vgpr3
	s_and_saveexec_b32 s14, s17
	s_cbranch_execz .LBB6_271
; %bb.263:
	s_mov_b32 s0, -1
	s_mov_b32 s15, s13
	s_mov_b32 s16, s7
	s_mov_b32 s17, exec_lo
	v_cmpx_gt_i32_e64 s12, v14
	s_cbranch_execz .LBB6_535
; %bb.264:
	v_mul_lo_u32 v0, v14, s3
	s_and_b32 s0, 0xffff, s5
	s_cmp_lt_i32 s0, 11
	v_ashrrev_i32_e32 v1, 31, v0
	v_add_co_u32 v0, vcc_lo, s10, v0
	v_add_co_ci_u32_e64 v1, null, s11, v1, vcc_lo
	s_cbranch_scc1 .LBB6_274
; %bb.265:
	s_cmp_gt_i32 s0, 25
	s_cbranch_scc0 .LBB6_293
; %bb.266:
	s_cmp_gt_i32 s0, 28
	s_cbranch_scc0 .LBB6_295
	;; [unrolled: 3-line block ×4, first 2 shown]
; %bb.269:
	s_cmp_eq_u32 s0, 46
	s_mov_b32 s18, 0
	s_cbranch_scc0 .LBB6_305
; %bb.270:
	global_load_dword v2, v[0:1], off
	s_mov_b32 s16, -1
	s_mov_b32 s15, 0
	s_waitcnt vmcnt(0)
	v_lshlrev_b32_e32 v2, 16, v2
	v_cvt_f64_f32_e32 v[2:3], v2
	s_branch .LBB6_307
.LBB6_271:
	s_or_b32 exec_lo, exec_lo, s14
	s_mov_b32 s12, 0
	s_and_saveexec_b32 s14, s13
	s_cbranch_execnz .LBB6_893
.LBB6_272:
	s_or_b32 exec_lo, exec_lo, s14
	s_and_saveexec_b32 s13, s15
	s_xor_b32 s13, exec_lo, s13
	s_cbranch_execz .LBB6_894
.LBB6_273:
	global_load_ubyte v2, v[0:1], off
	s_or_b32 s0, s0, exec_lo
	s_waitcnt vmcnt(0)
	v_cmp_ne_u16_e32 vcc_lo, 0, v2
	v_mov_b32_e32 v2, 0
	v_cndmask_b32_e64 v3, 0, 0x3ff00000, vcc_lo
	s_or_b32 exec_lo, exec_lo, s13
	s_and_saveexec_b32 s13, s16
	s_cbranch_execz .LBB6_940
	s_branch .LBB6_895
.LBB6_274:
	s_mov_b32 s16, 0
	s_mov_b32 s15, s13
                                        ; implicit-def: $vgpr2_vgpr3
	s_cbranch_execnz .LBB6_484
.LBB6_275:
	s_andn2_b32 vcc_lo, exec_lo, s16
	s_cbranch_vccnz .LBB6_532
.LBB6_276:
	v_mov_b32_e32 v0, 0
	v_mov_b32_e32 v1, 0
	s_mov_b32 s16, exec_lo
	s_waitcnt vmcnt(0)
	v_cmpx_neq_f64_e64 0x7ff00000, |v[2:3]|
	s_cbranch_execz .LBB6_286
; %bb.277:
	s_mov_b32 s18, exec_lo
                                        ; implicit-def: $vgpr0_vgpr1
	v_cmpx_nlt_f64_e64 |v[2:3]|, 0.5
	s_xor_b32 s18, exec_lo, s18
	s_cbranch_execz .LBB6_283
; %bb.278:
	v_cmp_ngt_f64_e64 s0, 0x41d00000, |v[2:3]|
                                        ; implicit-def: $vgpr6
                                        ; implicit-def: $vgpr0_vgpr1
                                        ; implicit-def: $vgpr4_vgpr5
	s_and_saveexec_b32 s19, s0
	s_xor_b32 s0, exec_lo, s19
	s_cbranch_execz .LBB6_280
; %bb.279:
	v_ldexp_f64 v[0:1], |v[2:3]|, 0xffffff80
	v_cmp_le_f64_e64 vcc_lo, 0x7b000000, |v[2:3]|
	v_trig_preop_f64 v[4:5], |v[2:3]|, 0
	v_and_b32_e32 v6, 0x7fffffff, v3
	v_trig_preop_f64 v[17:18], |v[2:3]|, 2
	v_mov_b32_e32 v25, 0
	s_mov_b32 s20, 0x54442d18
	s_mov_b32 s21, 0x3ff921fb
	;; [unrolled: 1-line block ×4, first 2 shown]
	v_cndmask_b32_e32 v1, v6, v1, vcc_lo
	v_cndmask_b32_e32 v0, v2, v0, vcc_lo
	v_trig_preop_f64 v[6:7], |v[2:3]|, 1
	v_mul_f64 v[8:9], v[4:5], v[0:1]
	v_mul_f64 v[23:24], v[17:18], v[0:1]
	;; [unrolled: 1-line block ×3, first 2 shown]
	v_fma_f64 v[4:5], v[4:5], v[0:1], -v[8:9]
	v_fma_f64 v[6:7], v[6:7], v[0:1], -v[10:11]
	;; [unrolled: 1-line block ×3, first 2 shown]
	v_add_f64 v[12:13], v[10:11], v[4:5]
	v_add_f64 v[15:16], v[12:13], -v[10:11]
	v_add_f64 v[21:22], v[8:9], v[12:13]
	v_add_f64 v[19:20], v[12:13], -v[15:16]
	v_add_f64 v[4:5], v[4:5], -v[15:16]
	v_ldexp_f64 v[15:16], v[21:22], -2
	v_add_f64 v[8:9], v[21:22], -v[8:9]
	v_add_f64 v[10:11], v[10:11], -v[19:20]
	v_add_f64 v[19:20], v[23:24], v[6:7]
	v_cmp_neq_f64_e64 vcc_lo, 0x7ff00000, |v[15:16]|
	v_add_f64 v[8:9], v[12:13], -v[8:9]
	v_add_f64 v[4:5], v[4:5], v[10:11]
	v_fract_f64_e32 v[10:11], v[15:16]
	v_add_f64 v[12:13], v[19:20], v[4:5]
	v_ldexp_f64 v[10:11], v[10:11], 2
	v_add_f64 v[15:16], v[8:9], v[12:13]
	v_cndmask_b32_e32 v11, 0, v11, vcc_lo
	v_cndmask_b32_e32 v10, 0, v10, vcc_lo
	v_add_f64 v[21:22], v[15:16], v[10:11]
	v_add_f64 v[8:9], v[15:16], -v[8:9]
	v_cmp_gt_f64_e32 vcc_lo, 0, v[21:22]
	v_add_f64 v[21:22], v[19:20], -v[23:24]
	v_cndmask_b32_e64 v26, 0, 0x40100000, vcc_lo
	v_add_f64 v[30:31], v[19:20], -v[21:22]
	v_add_f64 v[6:7], v[6:7], -v[21:22]
	v_add_f64 v[10:11], v[10:11], v[25:26]
	v_add_f64 v[26:27], v[12:13], -v[19:20]
	v_add_f64 v[21:22], v[23:24], -v[30:31]
	v_add_f64 v[28:29], v[15:16], v[10:11]
	;; [unrolled: 3-line block ×3, first 2 shown]
	v_cvt_i32_f64_e32 v28, v[28:29]
	v_add_f64 v[19:20], v[19:20], -v[32:33]
	v_cvt_f64_i32_e32 v[26:27], v28
	v_add_f64 v[4:5], v[4:5], v[19:20]
	v_add_f64 v[10:11], v[10:11], -v[26:27]
	v_add_f64 v[4:5], v[6:7], v[4:5]
	v_add_f64 v[6:7], v[12:13], -v[8:9]
	v_add_f64 v[17:18], v[15:16], v[10:11]
	v_add_f64 v[0:1], v[0:1], v[4:5]
	v_add_f64 v[4:5], v[17:18], -v[10:11]
	v_cmp_le_f64_e32 vcc_lo, 0.5, v[17:18]
	v_add_f64 v[0:1], v[6:7], v[0:1]
	v_add_f64 v[4:5], v[15:16], -v[4:5]
	v_cndmask_b32_e64 v26, 0, 0x3ff00000, vcc_lo
	v_add_co_ci_u32_e64 v6, null, 0, v28, vcc_lo
	v_add_f64 v[0:1], v[0:1], v[4:5]
	v_add_f64 v[4:5], v[17:18], -v[25:26]
	v_add_f64 v[7:8], v[4:5], v[0:1]
	v_mul_f64 v[9:10], v[7:8], s[20:21]
	v_add_f64 v[4:5], v[7:8], -v[4:5]
	v_fma_f64 v[11:12], v[7:8], s[20:21], -v[9:10]
	v_add_f64 v[0:1], v[0:1], -v[4:5]
	v_fma_f64 v[4:5], v[7:8], s[22:23], v[11:12]
	v_fma_f64 v[4:5], v[0:1], s[20:21], v[4:5]
	v_add_f64 v[0:1], v[9:10], v[4:5]
	v_add_f64 v[7:8], v[0:1], -v[9:10]
	v_add_f64 v[4:5], v[4:5], -v[7:8]
.LBB6_280:
	s_andn2_saveexec_b32 s0, s0
	s_cbranch_execz .LBB6_282
; %bb.281:
	s_mov_b32 s20, 0x6dc9c883
	s_mov_b32 s21, 0x3fe45f30
	;; [unrolled: 1-line block ×3, first 2 shown]
	v_mul_f64 v[0:1], |v[2:3]|, s[20:21]
	s_mov_b32 s20, 0x54442d18
	s_mov_b32 s21, 0xbff921fb
	;; [unrolled: 1-line block ×3, first 2 shown]
	v_rndne_f64_e32 v[6:7], v[0:1]
	v_fma_f64 v[0:1], v[6:7], s[20:21], |v[2:3]|
	v_mul_f64 v[4:5], v[6:7], s[22:23]
	s_mov_b32 s20, 0x252049c0
	s_mov_b32 s21, 0xb97b839a
	v_fma_f64 v[10:11], v[6:7], s[22:23], v[0:1]
	v_add_f64 v[8:9], v[0:1], v[4:5]
	s_mov_b32 s23, 0x3c91a626
	v_add_f64 v[0:1], v[0:1], -v[8:9]
	v_add_f64 v[8:9], v[8:9], -v[10:11]
	v_add_f64 v[0:1], v[0:1], v[4:5]
	v_fma_f64 v[4:5], v[6:7], s[22:23], v[4:5]
	v_add_f64 v[0:1], v[8:9], v[0:1]
	v_add_f64 v[0:1], v[0:1], -v[4:5]
	v_fma_f64 v[4:5], v[6:7], s[20:21], v[0:1]
	v_cvt_i32_f64_e32 v6, v[6:7]
	v_add_f64 v[0:1], v[10:11], v[4:5]
	v_add_f64 v[8:9], v[0:1], -v[10:11]
	v_add_f64 v[4:5], v[4:5], -v[8:9]
.LBB6_282:
	s_or_b32 exec_lo, exec_lo, s0
	v_mul_f64 v[7:8], v[0:1], v[0:1]
	s_mov_b32 s20, 0xb42fdfa7
	s_mov_b32 s22, 0xf9a43bb8
	;; [unrolled: 1-line block ×6, first 2 shown]
	v_mul_f64 v[19:20], v[4:5], 0.5
	v_cmp_class_f64_e64 s0, v[2:3], 0x1f8
	v_fma_f64 v[9:10], v[7:8], s[22:23], s[20:21]
	s_mov_b32 s20, 0x9037ab78
	s_mov_b32 s22, 0x46cc5e42
	;; [unrolled: 1-line block ×4, first 2 shown]
	v_mul_f64 v[15:16], v[7:8], 0.5
	v_fma_f64 v[11:12], v[7:8], s[22:23], s[20:21]
	s_mov_b32 s20, 0xa17f65f6
	s_mov_b32 s22, 0x19e83e5c
	;; [unrolled: 1-line block ×4, first 2 shown]
	v_mul_f64 v[21:22], v[0:1], -v[7:8]
	v_fma_f64 v[9:10], v[7:8], v[9:10], s[24:25]
	v_add_f64 v[17:18], -v[15:16], 1.0
	v_fma_f64 v[11:12], v[7:8], v[11:12], s[20:21]
	s_mov_b32 s20, 0x19f4ec90
	s_mov_b32 s21, 0x3efa01a0
	v_fma_f64 v[9:10], v[7:8], v[9:10], s[22:23]
	s_mov_b32 s22, 0x11110bb3
	s_mov_b32 s23, 0x3f811111
	v_add_f64 v[23:24], -v[17:18], 1.0
	v_fma_f64 v[11:12], v[7:8], v[11:12], s[20:21]
	s_mov_b32 s20, 0x16c16967
	s_mov_b32 s21, 0xbf56c16c
	v_fma_f64 v[9:10], v[7:8], v[9:10], s[22:23]
	v_add_f64 v[15:16], v[23:24], -v[15:16]
	v_fma_f64 v[11:12], v[7:8], v[11:12], s[20:21]
	s_mov_b32 s21, 0x3fa55555
	s_mov_b32 s20, 0x55555555
	v_fma_f64 v[9:10], v[21:22], v[9:10], v[19:20]
	v_mul_f64 v[19:20], v[7:8], v[7:8]
	v_fma_f64 v[15:16], v[0:1], -v[4:5], v[15:16]
	v_fma_f64 v[11:12], v[7:8], v[11:12], s[20:21]
	s_mov_b32 s21, 0xbfc55555
	v_fma_f64 v[4:5], v[7:8], v[9:10], -v[4:5]
	v_fma_f64 v[7:8], v[19:20], v[11:12], v[15:16]
	v_fma_f64 v[4:5], v[21:22], s[20:21], v[4:5]
	v_add_f64 v[7:8], v[17:18], v[7:8]
	v_add_f64 v[0:1], v[0:1], -v[4:5]
	v_and_b32_e32 v4, 1, v6
	v_cmp_eq_u32_e32 vcc_lo, 0, v4
	v_lshlrev_b32_e32 v4, 30, v6
	v_xor_b32_e32 v4, v4, v3
	v_and_b32_e32 v4, 0x80000000, v4
	v_cndmask_b32_e32 v1, v8, v1, vcc_lo
	v_cndmask_b32_e32 v0, v7, v0, vcc_lo
	v_xor_b32_e32 v1, v1, v4
	v_cndmask_b32_e64 v0, 0, v0, s0
	v_cndmask_b32_e64 v1, 0x7ff80000, v1, s0
	v_div_scale_f64 v[4:5], null, v[2:3], v[2:3], v[0:1]
	v_rcp_f64_e32 v[6:7], v[4:5]
	v_fma_f64 v[8:9], -v[4:5], v[6:7], 1.0
	v_fma_f64 v[6:7], v[6:7], v[8:9], v[6:7]
	v_fma_f64 v[8:9], -v[4:5], v[6:7], 1.0
	v_fma_f64 v[6:7], v[6:7], v[8:9], v[6:7]
	v_div_scale_f64 v[8:9], vcc_lo, v[0:1], v[2:3], v[0:1]
	v_mul_f64 v[10:11], v[8:9], v[6:7]
	v_fma_f64 v[4:5], -v[4:5], v[10:11], v[8:9]
	v_div_fmas_f64 v[4:5], v[4:5], v[6:7], v[10:11]
	v_div_fixup_f64 v[0:1], v[4:5], v[2:3], v[0:1]
                                        ; implicit-def: $vgpr2_vgpr3
.LBB6_283:
	s_andn2_saveexec_b32 s0, s18
	s_cbranch_execz .LBB6_285
; %bb.284:
	v_mul_f64 v[0:1], v[2:3], v[2:3]
	s_mov_b32 s18, 0x67f544e4
	s_mov_b32 s20, 0x13a86d09
	;; [unrolled: 1-line block ×4, first 2 shown]
	v_fma_f64 v[2:3], v[0:1], s[20:21], s[18:19]
	s_mov_b32 s18, 0xa556c734
	s_mov_b32 s19, 0x3ec71de3
	v_fma_f64 v[2:3], v[0:1], v[2:3], s[18:19]
	s_mov_b32 s18, 0x1a01a01a
	s_mov_b32 s19, 0xbf2a01a0
	;; [unrolled: 3-line block ×4, first 2 shown]
	v_fma_f64 v[2:3], v[0:1], v[2:3], s[18:19]
	v_fma_f64 v[0:1], v[0:1], v[2:3], 1.0
.LBB6_285:
	s_or_b32 exec_lo, exec_lo, s0
.LBB6_286:
	s_or_b32 exec_lo, exec_lo, s16
	v_mul_lo_u32 v2, v14, s2
	s_and_b32 s16, s1, 0xff
	s_cmp_lt_i32 s16, 11
	v_ashrrev_i32_e32 v3, 31, v2
	v_add_co_u32 v4, vcc_lo, s8, v2
	v_add_co_ci_u32_e64 v5, null, s9, v3, vcc_lo
	s_cbranch_scc1 .LBB6_294
; %bb.287:
	s_and_b32 s18, 0xffff, s16
	s_cmp_gt_i32 s18, 25
	s_cbranch_scc0 .LBB6_296
; %bb.288:
	s_cmp_gt_i32 s18, 28
	s_cbranch_scc0 .LBB6_298
; %bb.289:
	;; [unrolled: 3-line block ×4, first 2 shown]
	s_mov_b32 s20, 0
	s_mov_b32 s0, -1
	s_cmp_eq_u32 s18, 46
	s_mov_b32 s19, 0
	s_cbranch_scc0 .LBB6_311
; %bb.292:
	v_cvt_f32_f64_e32 v2, v[0:1]
	s_mov_b32 s19, -1
	s_mov_b32 s0, 0
	v_bfe_u32 v3, v2, 16, 1
	v_cmp_o_f32_e32 vcc_lo, v2, v2
	v_add3_u32 v2, v2, v3, 0x7fff
	v_mov_b32_e32 v3, 0x7fc0
	v_cndmask_b32_sdwa v2, v3, v2, vcc_lo dst_sel:DWORD dst_unused:UNUSED_PAD src0_sel:DWORD src1_sel:WORD_1
	global_store_dword v[4:5], v2, off
	s_branch .LBB6_311
.LBB6_293:
	s_mov_b32 s18, -1
	s_mov_b32 s16, 0
	s_mov_b32 s15, s13
                                        ; implicit-def: $vgpr2_vgpr3
	s_branch .LBB6_450
.LBB6_294:
	s_mov_b32 s18, -1
	s_mov_b32 s19, 0
	s_mov_b32 s0, s7
	s_branch .LBB6_380
.LBB6_295:
	s_mov_b32 s18, -1
	s_mov_b32 s16, 0
	s_mov_b32 s15, s13
                                        ; implicit-def: $vgpr2_vgpr3
	s_branch .LBB6_429
.LBB6_296:
	s_mov_b32 s20, -1
	s_mov_b32 s19, 0
	s_mov_b32 s0, s7
	s_branch .LBB6_338
.LBB6_297:
	s_mov_b32 s18, -1
	s_mov_b32 s16, 0
	s_mov_b32 s15, s13
                                        ; implicit-def: $vgpr2_vgpr3
	s_branch .LBB6_424
.LBB6_298:
	s_mov_b32 s20, -1
	s_mov_b32 s19, 0
	s_mov_b32 s0, s7
	s_branch .LBB6_321
.LBB6_299:
	s_andn2_saveexec_b32 s19, s19
	s_cbranch_execz .LBB6_64
.LBB6_300:
	v_add_f32_e64 v3, 0x46000000, |v2|
	s_andn2_b32 s18, s18, exec_lo
	v_and_b32_e32 v3, 0xff, v3
	v_cmp_ne_u32_e32 vcc_lo, 0, v3
	s_and_b32 s20, vcc_lo, exec_lo
	s_or_b32 s18, s18, s20
	s_or_b32 exec_lo, exec_lo, s19
	v_mov_b32_e32 v6, 0
	s_and_saveexec_b32 s19, s18
	s_cbranch_execnz .LBB6_65
	s_branch .LBB6_66
.LBB6_301:
	s_mov_b32 s18, -1
	s_mov_b32 s16, 0
	s_mov_b32 s15, s13
	s_branch .LBB6_306
.LBB6_302:
	s_mov_b32 s20, -1
	s_mov_b32 s19, 0
	s_mov_b32 s0, s7
	s_branch .LBB6_317
.LBB6_303:
	s_andn2_saveexec_b32 s19, s19
	s_cbranch_execz .LBB6_77
.LBB6_304:
	v_add_f32_e64 v3, 0x42800000, |v2|
	s_andn2_b32 s18, s18, exec_lo
	v_and_b32_e32 v3, 0xff, v3
	v_cmp_ne_u32_e32 vcc_lo, 0, v3
	s_and_b32 s20, vcc_lo, exec_lo
	s_or_b32 s18, s18, s20
	s_or_b32 exec_lo, exec_lo, s19
	v_mov_b32_e32 v6, 0
	s_and_saveexec_b32 s19, s18
	s_cbranch_execnz .LBB6_78
	s_branch .LBB6_79
.LBB6_305:
	s_mov_b32 s15, -1
	s_mov_b32 s16, 0
.LBB6_306:
                                        ; implicit-def: $vgpr2_vgpr3
.LBB6_307:
	s_and_b32 vcc_lo, exec_lo, s18
	s_cbranch_vccz .LBB6_423
; %bb.308:
	s_cmp_eq_u32 s0, 44
	s_cbranch_scc0 .LBB6_422
; %bb.309:
	global_load_ubyte v4, v[0:1], off
	s_mov_b32 s15, 0
	s_mov_b32 s16, -1
	s_waitcnt vmcnt(0)
	v_lshlrev_b32_e32 v2, 23, v4
	v_cmp_ne_u32_e32 vcc_lo, 0xff, v4
	v_cvt_f64_f32_e32 v[2:3], v2
	v_cndmask_b32_e32 v2, 0x20000000, v2, vcc_lo
	v_cndmask_b32_e32 v3, 0x7ff80000, v3, vcc_lo
	v_cmp_ne_u32_e32 vcc_lo, 0, v4
	v_cndmask_b32_e32 v3, 0x38000000, v3, vcc_lo
	v_cndmask_b32_e32 v2, 0, v2, vcc_lo
	s_branch .LBB6_423
.LBB6_310:
	s_mov_b32 s20, -1
	s_mov_b32 s19, 0
	s_mov_b32 s0, s7
.LBB6_311:
	s_and_b32 vcc_lo, exec_lo, s20
	s_cbranch_vccz .LBB6_316
; %bb.312:
	s_cmp_eq_u32 s18, 44
	s_mov_b32 s0, -1
	s_cbranch_scc0 .LBB6_316
; %bb.313:
	v_cvt_f32_f64_e32 v2, v[0:1]
	v_mov_b32_e32 v3, 0xff
	s_mov_b32 s19, exec_lo
	v_bfe_u32 v6, v2, 23, 8
	v_cmpx_ne_u32_e32 0xff, v6
	s_cbranch_execz .LBB6_315
; %bb.314:
	v_and_b32_e32 v3, 0x400000, v2
	v_and_or_b32 v6, 0x3fffff, v2, v6
	v_lshrrev_b32_e32 v2, 23, v2
	v_cmp_ne_u32_e32 vcc_lo, 0, v3
	v_cmp_ne_u32_e64 s0, 0, v6
	s_and_b32 s0, vcc_lo, s0
	v_cndmask_b32_e64 v3, 0, 1, s0
	v_add_nc_u32_e32 v3, v2, v3
.LBB6_315:
	s_or_b32 exec_lo, exec_lo, s19
	s_mov_b32 s19, -1
	s_mov_b32 s0, 0
	global_store_byte v[4:5], v3, off
.LBB6_316:
	s_mov_b32 s20, 0
.LBB6_317:
	s_and_b32 vcc_lo, exec_lo, s20
	s_cbranch_vccz .LBB6_320
; %bb.318:
	s_cmp_eq_u32 s18, 29
	s_mov_b32 s0, -1
	s_cbranch_scc0 .LBB6_320
; %bb.319:
	v_trunc_f64_e32 v[2:3], v[0:1]
	s_mov_b32 s19, -1
	s_mov_b32 s0, 0
	s_mov_b32 s20, 0
	v_ldexp_f64 v[6:7], v[2:3], 0xffffffe0
	v_floor_f64_e32 v[6:7], v[6:7]
	v_fma_f64 v[2:3], 0xc1f00000, v[6:7], v[2:3]
	v_cvt_u32_f64_e32 v7, v[6:7]
	v_cvt_u32_f64_e32 v6, v[2:3]
	global_store_dwordx2 v[4:5], v[6:7], off
	s_branch .LBB6_321
.LBB6_320:
	s_mov_b32 s20, 0
.LBB6_321:
	s_and_b32 vcc_lo, exec_lo, s20
	s_cbranch_vccz .LBB6_337
; %bb.322:
	s_cmp_lt_i32 s18, 27
	s_mov_b32 s19, -1
	s_cbranch_scc1 .LBB6_328
; %bb.323:
	v_cvt_u32_f64_e32 v2, v[0:1]
	s_cmp_gt_i32 s18, 27
	s_cbranch_scc0 .LBB6_325
; %bb.324:
	s_mov_b32 s19, 0
	global_store_dword v[4:5], v2, off
.LBB6_325:
	s_andn2_b32 vcc_lo, exec_lo, s19
	s_cbranch_vccnz .LBB6_327
; %bb.326:
	global_store_short v[4:5], v2, off
.LBB6_327:
	s_mov_b32 s19, 0
.LBB6_328:
	s_andn2_b32 vcc_lo, exec_lo, s19
	s_cbranch_vccnz .LBB6_336
; %bb.329:
	v_cvt_f32_f64_e32 v2, v[0:1]
	v_mov_b32_e32 v6, 0x80
	s_mov_b32 s19, exec_lo
	v_and_b32_e32 v3, 0x7fffffff, v2
	v_cmpx_gt_u32_e32 0x43800000, v3
	s_cbranch_execz .LBB6_335
; %bb.330:
	v_cmp_lt_u32_e32 vcc_lo, 0x3bffffff, v3
	s_mov_b32 s20, 0
                                        ; implicit-def: $vgpr3
	s_and_saveexec_b32 s21, vcc_lo
	s_xor_b32 s21, exec_lo, s21
	s_cbranch_execz .LBB6_548
; %bb.331:
	v_bfe_u32 v3, v2, 20, 1
	s_mov_b32 s20, exec_lo
	v_add3_u32 v3, v2, v3, 0x487ffff
	v_lshrrev_b32_e32 v3, 20, v3
	s_andn2_saveexec_b32 s21, s21
	s_cbranch_execnz .LBB6_549
.LBB6_332:
	s_or_b32 exec_lo, exec_lo, s21
	v_mov_b32_e32 v6, 0
	s_and_saveexec_b32 s21, s20
.LBB6_333:
	v_lshrrev_b32_e32 v2, 24, v2
	v_and_or_b32 v6, 0x80, v2, v3
.LBB6_334:
	s_or_b32 exec_lo, exec_lo, s21
.LBB6_335:
	s_or_b32 exec_lo, exec_lo, s19
	global_store_byte v[4:5], v6, off
.LBB6_336:
	s_mov_b32 s19, -1
.LBB6_337:
	s_mov_b32 s20, 0
.LBB6_338:
	s_and_b32 vcc_lo, exec_lo, s20
	s_cbranch_vccz .LBB6_379
; %bb.339:
	s_cmp_gt_i32 s18, 22
	s_mov_b32 s20, -1
	s_cbranch_scc0 .LBB6_371
; %bb.340:
	s_cmp_lt_i32 s18, 24
	s_mov_b32 s19, -1
	s_cbranch_scc1 .LBB6_360
; %bb.341:
	s_cmp_gt_i32 s18, 24
	s_cbranch_scc0 .LBB6_349
; %bb.342:
	v_cvt_f32_f64_e32 v2, v[0:1]
	v_mov_b32_e32 v6, 0x80
	s_mov_b32 s19, exec_lo
	v_and_b32_e32 v3, 0x7fffffff, v2
	v_cmpx_gt_u32_e32 0x47800000, v3
	s_cbranch_execz .LBB6_348
; %bb.343:
	v_cmp_lt_u32_e32 vcc_lo, 0x37ffffff, v3
	s_mov_b32 s20, 0
                                        ; implicit-def: $vgpr3
	s_and_saveexec_b32 s21, vcc_lo
	s_xor_b32 s21, exec_lo, s21
	s_cbranch_execz .LBB6_551
; %bb.344:
	v_bfe_u32 v3, v2, 21, 1
	s_mov_b32 s20, exec_lo
	v_add3_u32 v3, v2, v3, 0x88fffff
	v_lshrrev_b32_e32 v3, 21, v3
	s_andn2_saveexec_b32 s21, s21
	s_cbranch_execnz .LBB6_552
.LBB6_345:
	s_or_b32 exec_lo, exec_lo, s21
	v_mov_b32_e32 v6, 0
	s_and_saveexec_b32 s21, s20
.LBB6_346:
	v_lshrrev_b32_e32 v2, 24, v2
	v_and_or_b32 v6, 0x80, v2, v3
.LBB6_347:
	s_or_b32 exec_lo, exec_lo, s21
.LBB6_348:
	s_or_b32 exec_lo, exec_lo, s19
	s_mov_b32 s19, 0
	global_store_byte v[4:5], v6, off
.LBB6_349:
	s_and_b32 vcc_lo, exec_lo, s19
	s_cbranch_vccz .LBB6_359
; %bb.350:
	v_cvt_f32_f64_e32 v2, v[0:1]
	s_mov_b32 s19, exec_lo
                                        ; implicit-def: $vgpr3
	v_and_b32_e32 v6, 0x7fffffff, v2
	v_cmpx_gt_u32_e32 0x43f00000, v6
	s_xor_b32 s19, exec_lo, s19
	s_cbranch_execz .LBB6_356
; %bb.351:
	s_mov_b32 s20, exec_lo
                                        ; implicit-def: $vgpr3
	v_cmpx_lt_u32_e32 0x3c7fffff, v6
	s_xor_b32 s20, exec_lo, s20
; %bb.352:
	v_bfe_u32 v3, v2, 20, 1
	v_add3_u32 v3, v2, v3, 0x407ffff
	v_and_b32_e32 v6, 0xff00000, v3
	v_lshrrev_b32_e32 v3, 20, v3
	v_cmp_ne_u32_e32 vcc_lo, 0x7f00000, v6
	v_cndmask_b32_e32 v3, 0x7e, v3, vcc_lo
; %bb.353:
	s_andn2_saveexec_b32 s20, s20
; %bb.354:
	v_add_f32_e64 v3, 0x46800000, |v2|
; %bb.355:
	s_or_b32 exec_lo, exec_lo, s20
                                        ; implicit-def: $vgpr6
.LBB6_356:
	s_andn2_saveexec_b32 s19, s19
; %bb.357:
	v_mov_b32_e32 v3, 0x7f
	v_cmp_lt_u32_e32 vcc_lo, 0x7f800000, v6
	v_cndmask_b32_e32 v3, 0x7e, v3, vcc_lo
; %bb.358:
	s_or_b32 exec_lo, exec_lo, s19
	v_lshrrev_b32_e32 v2, 24, v2
	v_and_or_b32 v2, 0x80, v2, v3
	global_store_byte v[4:5], v2, off
.LBB6_359:
	s_mov_b32 s19, 0
.LBB6_360:
	s_andn2_b32 vcc_lo, exec_lo, s19
	s_cbranch_vccnz .LBB6_370
; %bb.361:
	v_cvt_f32_f64_e32 v2, v[0:1]
	s_mov_b32 s19, exec_lo
                                        ; implicit-def: $vgpr3
	v_and_b32_e32 v6, 0x7fffffff, v2
	v_cmpx_gt_u32_e32 0x47800000, v6
	s_xor_b32 s19, exec_lo, s19
	s_cbranch_execz .LBB6_367
; %bb.362:
	s_mov_b32 s20, exec_lo
                                        ; implicit-def: $vgpr3
	v_cmpx_lt_u32_e32 0x387fffff, v6
	s_xor_b32 s20, exec_lo, s20
; %bb.363:
	v_bfe_u32 v3, v2, 21, 1
	v_add3_u32 v3, v2, v3, 0x80fffff
	v_lshrrev_b32_e32 v3, 21, v3
; %bb.364:
	s_andn2_saveexec_b32 s20, s20
; %bb.365:
	v_add_f32_e64 v3, 0x43000000, |v2|
; %bb.366:
	s_or_b32 exec_lo, exec_lo, s20
                                        ; implicit-def: $vgpr6
.LBB6_367:
	s_andn2_saveexec_b32 s19, s19
; %bb.368:
	v_mov_b32_e32 v3, 0x7f
	v_cmp_lt_u32_e32 vcc_lo, 0x7f800000, v6
	v_cndmask_b32_e32 v3, 0x7c, v3, vcc_lo
; %bb.369:
	s_or_b32 exec_lo, exec_lo, s19
	v_lshrrev_b32_e32 v2, 24, v2
	v_and_or_b32 v2, 0x80, v2, v3
	global_store_byte v[4:5], v2, off
.LBB6_370:
	s_mov_b32 s20, 0
	s_mov_b32 s19, -1
.LBB6_371:
	s_andn2_b32 vcc_lo, exec_lo, s20
	s_cbranch_vccnz .LBB6_379
; %bb.372:
	s_cmp_gt_i32 s18, 14
	s_mov_b32 s20, -1
	s_cbranch_scc0 .LBB6_376
; %bb.373:
	s_cmp_eq_u32 s18, 15
	s_mov_b32 s0, -1
	s_cbranch_scc0 .LBB6_375
; %bb.374:
	v_cvt_f32_f64_e32 v2, v[0:1]
	s_mov_b32 s19, -1
	s_mov_b32 s0, 0
	v_bfe_u32 v3, v2, 16, 1
	v_cmp_o_f32_e32 vcc_lo, v2, v2
	v_add3_u32 v2, v2, v3, 0x7fff
	v_mov_b32_e32 v3, 0x7fc0
	v_cndmask_b32_sdwa v2, v3, v2, vcc_lo dst_sel:DWORD dst_unused:UNUSED_PAD src0_sel:DWORD src1_sel:WORD_1
	global_store_short v[4:5], v2, off
.LBB6_375:
	s_mov_b32 s20, 0
.LBB6_376:
	s_and_b32 vcc_lo, exec_lo, s20
	s_cbranch_vccz .LBB6_379
; %bb.377:
	s_cmp_eq_u32 s18, 11
	s_mov_b32 s0, -1
	s_cbranch_scc0 .LBB6_379
; %bb.378:
	v_cmp_neq_f64_e32 vcc_lo, 0, v[0:1]
	s_mov_b32 s19, -1
	s_mov_b32 s0, 0
	v_cndmask_b32_e64 v2, 0, 1, vcc_lo
	global_store_byte v[4:5], v2, off
.LBB6_379:
	s_mov_b32 s18, 0
.LBB6_380:
	s_and_b32 vcc_lo, exec_lo, s18
	s_cbranch_vccz .LBB6_419
; %bb.381:
	s_and_b32 s16, 0xffff, s16
	s_mov_b32 s18, -1
	s_cmp_lt_i32 s16, 5
	s_cbranch_scc1 .LBB6_402
; %bb.382:
	s_cmp_lt_i32 s16, 8
	s_cbranch_scc1 .LBB6_392
; %bb.383:
	s_cmp_lt_i32 s16, 9
	s_cbranch_scc1 .LBB6_389
; %bb.384:
	s_cmp_gt_i32 s16, 9
	s_cbranch_scc0 .LBB6_386
; %bb.385:
	v_mov_b32_e32 v2, 0
	s_mov_b32 s18, 0
	v_mov_b32_e32 v3, v2
	global_store_dwordx4 v[4:5], v[0:3], off
.LBB6_386:
	s_andn2_b32 vcc_lo, exec_lo, s18
	s_cbranch_vccnz .LBB6_388
; %bb.387:
	v_cvt_f32_f64_e32 v2, v[0:1]
	v_mov_b32_e32 v3, 0
	global_store_dwordx2 v[4:5], v[2:3], off
.LBB6_388:
	s_mov_b32 s18, 0
.LBB6_389:
	s_andn2_b32 vcc_lo, exec_lo, s18
	s_cbranch_vccnz .LBB6_391
; %bb.390:
	v_and_or_b32 v2, 0x1ff, v1, v0
	v_lshrrev_b32_e32 v3, 8, v1
	v_bfe_u32 v6, v1, 20, 11
	v_cmp_ne_u32_e32 vcc_lo, 0, v2
	v_sub_nc_u32_e32 v7, 0x3f1, v6
	v_add_nc_u32_e32 v6, 0xfffffc10, v6
	v_cndmask_b32_e64 v2, 0, 1, vcc_lo
	v_and_or_b32 v2, 0xffe, v3, v2
	v_med3_i32 v3, v7, 0, 13
	v_or_b32_e32 v7, 0x1000, v2
	v_lshrrev_b32_e32 v8, v3, v7
	v_lshlrev_b32_e32 v3, v3, v8
	v_cmp_ne_u32_e32 vcc_lo, v3, v7
	v_lshl_or_b32 v7, v6, 12, v2
	v_cndmask_b32_e64 v3, 0, 1, vcc_lo
	v_cmp_gt_i32_e32 vcc_lo, 1, v6
	v_or_b32_e32 v3, v8, v3
	v_cndmask_b32_e32 v3, v7, v3, vcc_lo
	v_and_b32_e32 v7, 7, v3
	v_lshrrev_b32_e32 v3, 2, v3
	v_cmp_lt_i32_e32 vcc_lo, 5, v7
	v_cndmask_b32_e64 v8, 0, 1, vcc_lo
	v_cmp_eq_u32_e32 vcc_lo, 3, v7
	v_cndmask_b32_e64 v7, 0, 1, vcc_lo
	v_cmp_ne_u32_e32 vcc_lo, 0, v2
	v_or_b32_e32 v7, v7, v8
	v_mov_b32_e32 v8, 0x7e00
	v_add_nc_u32_e32 v3, v3, v7
	v_cndmask_b32_e32 v2, 0x7c00, v8, vcc_lo
	v_cmp_gt_i32_e32 vcc_lo, 31, v6
	v_cndmask_b32_e32 v3, 0x7c00, v3, vcc_lo
	v_cmp_eq_u32_e32 vcc_lo, 0x40f, v6
	v_cndmask_b32_e32 v2, v3, v2, vcc_lo
	v_lshrrev_b32_e32 v3, 16, v1
	v_and_or_b32 v2, 0x8000, v3, v2
	v_and_b32_e32 v2, 0xffff, v2
	global_store_dword v[4:5], v2, off
.LBB6_391:
	s_mov_b32 s18, 0
.LBB6_392:
	s_andn2_b32 vcc_lo, exec_lo, s18
	s_cbranch_vccnz .LBB6_401
; %bb.393:
	s_cmp_lt_i32 s16, 6
	s_mov_b32 s18, -1
	s_cbranch_scc1 .LBB6_399
; %bb.394:
	s_cmp_gt_i32 s16, 6
	s_cbranch_scc0 .LBB6_396
; %bb.395:
	s_mov_b32 s18, 0
	global_store_dwordx2 v[4:5], v[0:1], off
.LBB6_396:
	s_andn2_b32 vcc_lo, exec_lo, s18
	s_cbranch_vccnz .LBB6_398
; %bb.397:
	v_cvt_f32_f64_e32 v2, v[0:1]
	global_store_dword v[4:5], v2, off
.LBB6_398:
	s_mov_b32 s18, 0
.LBB6_399:
	s_andn2_b32 vcc_lo, exec_lo, s18
	s_cbranch_vccnz .LBB6_401
; %bb.400:
	v_and_or_b32 v2, 0x1ff, v1, v0
	v_lshrrev_b32_e32 v3, 8, v1
	v_bfe_u32 v6, v1, 20, 11
	v_cmp_ne_u32_e32 vcc_lo, 0, v2
	v_sub_nc_u32_e32 v7, 0x3f1, v6
	v_add_nc_u32_e32 v6, 0xfffffc10, v6
	v_cndmask_b32_e64 v2, 0, 1, vcc_lo
	v_and_or_b32 v2, 0xffe, v3, v2
	v_med3_i32 v3, v7, 0, 13
	v_or_b32_e32 v7, 0x1000, v2
	v_lshrrev_b32_e32 v8, v3, v7
	v_lshlrev_b32_e32 v3, v3, v8
	v_cmp_ne_u32_e32 vcc_lo, v3, v7
	v_lshl_or_b32 v7, v6, 12, v2
	v_cndmask_b32_e64 v3, 0, 1, vcc_lo
	v_cmp_gt_i32_e32 vcc_lo, 1, v6
	v_or_b32_e32 v3, v8, v3
	v_cndmask_b32_e32 v3, v7, v3, vcc_lo
	v_and_b32_e32 v7, 7, v3
	v_lshrrev_b32_e32 v3, 2, v3
	v_cmp_lt_i32_e32 vcc_lo, 5, v7
	v_cndmask_b32_e64 v8, 0, 1, vcc_lo
	v_cmp_eq_u32_e32 vcc_lo, 3, v7
	v_cndmask_b32_e64 v7, 0, 1, vcc_lo
	v_cmp_ne_u32_e32 vcc_lo, 0, v2
	v_or_b32_e32 v7, v7, v8
	v_mov_b32_e32 v8, 0x7e00
	v_add_nc_u32_e32 v3, v3, v7
	v_cndmask_b32_e32 v2, 0x7c00, v8, vcc_lo
	v_cmp_gt_i32_e32 vcc_lo, 31, v6
	v_cndmask_b32_e32 v3, 0x7c00, v3, vcc_lo
	v_cmp_eq_u32_e32 vcc_lo, 0x40f, v6
	v_cndmask_b32_e32 v2, v3, v2, vcc_lo
	v_lshrrev_b32_e32 v3, 16, v1
	v_and_or_b32 v2, 0x8000, v3, v2
	global_store_short v[4:5], v2, off
.LBB6_401:
	s_mov_b32 s18, 0
.LBB6_402:
	s_andn2_b32 vcc_lo, exec_lo, s18
	s_cbranch_vccnz .LBB6_418
; %bb.403:
	s_cmp_lt_i32 s16, 2
	s_mov_b32 s18, -1
	s_cbranch_scc1 .LBB6_413
; %bb.404:
	s_cmp_lt_i32 s16, 3
	s_cbranch_scc1 .LBB6_410
; %bb.405:
	s_cmp_gt_i32 s16, 3
	s_cbranch_scc0 .LBB6_407
; %bb.406:
	v_trunc_f64_e32 v[2:3], v[0:1]
	s_mov_b32 s18, 0
	v_ldexp_f64 v[6:7], v[2:3], 0xffffffe0
	v_floor_f64_e32 v[6:7], v[6:7]
	v_fma_f64 v[2:3], 0xc1f00000, v[6:7], v[2:3]
	v_cvt_i32_f64_e32 v7, v[6:7]
	v_cvt_u32_f64_e32 v6, v[2:3]
	global_store_dwordx2 v[4:5], v[6:7], off
.LBB6_407:
	s_andn2_b32 vcc_lo, exec_lo, s18
	s_cbranch_vccnz .LBB6_409
; %bb.408:
	v_cvt_i32_f64_e32 v2, v[0:1]
	global_store_dword v[4:5], v2, off
.LBB6_409:
	s_mov_b32 s18, 0
.LBB6_410:
	s_andn2_b32 vcc_lo, exec_lo, s18
	s_cbranch_vccnz .LBB6_412
; %bb.411:
	v_cvt_i32_f64_e32 v2, v[0:1]
	global_store_short v[4:5], v2, off
.LBB6_412:
	s_mov_b32 s18, 0
.LBB6_413:
	s_andn2_b32 vcc_lo, exec_lo, s18
	s_cbranch_vccnz .LBB6_418
; %bb.414:
	s_cmp_gt_i32 s16, 0
	s_mov_b32 s16, -1
	s_cbranch_scc0 .LBB6_416
; %bb.415:
	v_cvt_i32_f64_e32 v2, v[0:1]
	s_mov_b32 s16, 0
	global_store_byte v[4:5], v2, off
.LBB6_416:
	s_andn2_b32 vcc_lo, exec_lo, s16
	s_cbranch_vccnz .LBB6_418
; %bb.417:
	v_trunc_f64_e32 v[0:1], v[0:1]
	v_ldexp_f64 v[2:3], v[0:1], 0xffffffe0
	v_floor_f64_e32 v[2:3], v[2:3]
	v_fma_f64 v[0:1], 0xc1f00000, v[2:3], v[0:1]
	v_cvt_u32_f64_e32 v0, v[0:1]
	global_store_byte v[4:5], v0, off
.LBB6_418:
	s_mov_b32 s19, -1
.LBB6_419:
	s_andn2_b32 vcc_lo, exec_lo, s19
	s_cbranch_vccnz .LBB6_421
; %bb.420:
	v_add_nc_u32_e32 v14, 0x80, v14
	s_mov_b32 s18, -1
	s_branch .LBB6_534
.LBB6_421:
	s_mov_b32 s18, 0
	s_branch .LBB6_533
.LBB6_422:
	s_mov_b32 s15, -1
                                        ; implicit-def: $vgpr2_vgpr3
.LBB6_423:
	s_mov_b32 s18, 0
.LBB6_424:
	s_and_b32 vcc_lo, exec_lo, s18
	s_cbranch_vccz .LBB6_428
; %bb.425:
	s_cmp_eq_u32 s0, 29
	s_cbranch_scc0 .LBB6_427
; %bb.426:
	global_load_dwordx2 v[2:3], v[0:1], off
	s_mov_b32 s16, -1
	s_mov_b32 s15, 0
	s_mov_b32 s18, 0
	s_waitcnt vmcnt(0)
	v_cvt_f64_u32_e32 v[3:4], v3
	v_cvt_f64_u32_e32 v[5:6], v2
	v_ldexp_f64 v[3:4], v[3:4], 32
	v_add_f64 v[2:3], v[3:4], v[5:6]
	s_branch .LBB6_429
.LBB6_427:
	s_mov_b32 s15, -1
                                        ; implicit-def: $vgpr2_vgpr3
.LBB6_428:
	s_mov_b32 s18, 0
.LBB6_429:
	s_and_b32 vcc_lo, exec_lo, s18
	s_cbranch_vccz .LBB6_449
; %bb.430:
	s_cmp_lt_i32 s0, 27
	s_cbranch_scc1 .LBB6_433
; %bb.431:
	s_cmp_gt_i32 s0, 27
	s_cbranch_scc0 .LBB6_434
; %bb.432:
	global_load_dword v2, v[0:1], off
	s_mov_b32 s16, 0
	s_waitcnt vmcnt(0)
	v_cvt_f64_u32_e32 v[2:3], v2
	s_branch .LBB6_435
.LBB6_433:
	s_mov_b32 s16, -1
                                        ; implicit-def: $vgpr2_vgpr3
	s_branch .LBB6_438
.LBB6_434:
	s_mov_b32 s16, -1
                                        ; implicit-def: $vgpr2_vgpr3
.LBB6_435:
	s_andn2_b32 vcc_lo, exec_lo, s16
	s_cbranch_vccnz .LBB6_437
; %bb.436:
	global_load_ushort v2, v[0:1], off
	s_waitcnt vmcnt(0)
	v_cvt_f64_u32_e32 v[2:3], v2
.LBB6_437:
	s_mov_b32 s16, 0
.LBB6_438:
	s_andn2_b32 vcc_lo, exec_lo, s16
	s_cbranch_vccnz .LBB6_448
; %bb.439:
	global_load_ubyte v4, v[0:1], off
	s_mov_b32 s16, 0
	s_mov_b32 s18, exec_lo
	s_waitcnt vmcnt(0)
	v_cmpx_lt_i16_e32 0x7f, v4
	s_xor_b32 s18, exec_lo, s18
	s_cbranch_execz .LBB6_443
; %bb.440:
	s_mov_b32 s16, -1
	s_mov_b32 s19, exec_lo
	v_cmpx_eq_u16_e32 0x80, v4
; %bb.441:
	s_xor_b32 s16, exec_lo, -1
; %bb.442:
	s_or_b32 exec_lo, exec_lo, s19
	s_and_b32 s16, s16, exec_lo
.LBB6_443:
	s_or_saveexec_b32 s18, s18
	v_bfrev_b32_e32 v2, 4
	v_mov_b32_e32 v3, 0x7ff80000
	s_xor_b32 exec_lo, exec_lo, s18
; %bb.444:
	v_cmp_ne_u16_e32 vcc_lo, 0, v4
	v_mov_b32_e32 v2, 0
	v_mov_b32_e32 v3, 0
	s_andn2_b32 s16, s16, exec_lo
	s_and_b32 s19, vcc_lo, exec_lo
	s_or_b32 s16, s16, s19
; %bb.445:
	s_or_b32 exec_lo, exec_lo, s18
	s_and_saveexec_b32 s18, s16
	s_cbranch_execz .LBB6_447
; %bb.446:
	v_and_b32_e32 v2, 0xffff, v4
	v_lshlrev_b32_e32 v4, 24, v4
	v_and_b32_e32 v3, 7, v2
	v_bfe_u32 v7, v2, 3, 4
	v_ffbh_u32_e32 v5, v3
	v_cmp_eq_u32_e32 vcc_lo, 0, v7
	v_min_u32_e32 v5, 32, v5
	v_subrev_nc_u32_e32 v6, 28, v5
	v_sub_nc_u32_e32 v5, 29, v5
	v_lshlrev_b32_e32 v2, v6, v2
	v_cndmask_b32_e32 v5, v7, v5, vcc_lo
	v_and_b32_e32 v2, 7, v2
	v_cndmask_b32_e32 v2, v3, v2, vcc_lo
	v_and_b32_e32 v3, 0x80000000, v4
	v_lshl_add_u32 v4, v5, 23, 0x3b800000
	v_lshlrev_b32_e32 v2, 20, v2
	v_or3_b32 v2, v3, v4, v2
	v_cvt_f64_f32_e32 v[2:3], v2
.LBB6_447:
	s_or_b32 exec_lo, exec_lo, s18
.LBB6_448:
	s_mov_b32 s16, -1
.LBB6_449:
	s_mov_b32 s18, 0
.LBB6_450:
	s_and_b32 vcc_lo, exec_lo, s18
	s_cbranch_vccz .LBB6_483
; %bb.451:
	s_cmp_gt_i32 s0, 22
	s_cbranch_scc0 .LBB6_463
; %bb.452:
	s_cmp_lt_i32 s0, 24
	s_cbranch_scc1 .LBB6_464
; %bb.453:
	s_cmp_gt_i32 s0, 24
	s_cbranch_scc0 .LBB6_465
; %bb.454:
	global_load_ubyte v4, v[0:1], off
	s_mov_b32 s16, 0
	s_mov_b32 s18, exec_lo
	s_waitcnt vmcnt(0)
	v_cmpx_lt_i16_e32 0x7f, v4
	s_xor_b32 s18, exec_lo, s18
	s_cbranch_execz .LBB6_458
; %bb.455:
	s_mov_b32 s16, -1
	s_mov_b32 s19, exec_lo
	v_cmpx_eq_u16_e32 0x80, v4
; %bb.456:
	s_xor_b32 s16, exec_lo, -1
; %bb.457:
	s_or_b32 exec_lo, exec_lo, s19
	s_and_b32 s16, s16, exec_lo
.LBB6_458:
	s_or_saveexec_b32 s18, s18
	v_bfrev_b32_e32 v2, 4
	v_mov_b32_e32 v3, 0x7ff80000
	s_xor_b32 exec_lo, exec_lo, s18
; %bb.459:
	v_cmp_ne_u16_e32 vcc_lo, 0, v4
	v_mov_b32_e32 v2, 0
	v_mov_b32_e32 v3, 0
	s_andn2_b32 s16, s16, exec_lo
	s_and_b32 s19, vcc_lo, exec_lo
	s_or_b32 s16, s16, s19
; %bb.460:
	s_or_b32 exec_lo, exec_lo, s18
	s_and_saveexec_b32 s18, s16
	s_cbranch_execz .LBB6_462
; %bb.461:
	v_and_b32_e32 v2, 0xffff, v4
	v_lshlrev_b32_e32 v4, 24, v4
	v_and_b32_e32 v3, 3, v2
	v_bfe_u32 v7, v2, 2, 5
	v_ffbh_u32_e32 v5, v3
	v_cmp_eq_u32_e32 vcc_lo, 0, v7
	v_min_u32_e32 v5, 32, v5
	v_subrev_nc_u32_e32 v6, 29, v5
	v_sub_nc_u32_e32 v5, 30, v5
	v_lshlrev_b32_e32 v2, v6, v2
	v_cndmask_b32_e32 v5, v7, v5, vcc_lo
	v_and_b32_e32 v2, 3, v2
	v_cndmask_b32_e32 v2, v3, v2, vcc_lo
	v_and_b32_e32 v3, 0x80000000, v4
	v_lshl_add_u32 v4, v5, 23, 0x37800000
	v_lshlrev_b32_e32 v2, 21, v2
	v_or3_b32 v2, v3, v4, v2
	v_cvt_f64_f32_e32 v[2:3], v2
.LBB6_462:
	s_or_b32 exec_lo, exec_lo, s18
	s_mov_b32 s16, 0
	s_branch .LBB6_466
.LBB6_463:
	s_mov_b32 s18, -1
                                        ; implicit-def: $vgpr2_vgpr3
	s_branch .LBB6_472
.LBB6_464:
	s_mov_b32 s16, -1
                                        ; implicit-def: $vgpr2_vgpr3
	s_branch .LBB6_469
.LBB6_465:
	s_mov_b32 s16, -1
                                        ; implicit-def: $vgpr2_vgpr3
.LBB6_466:
	s_and_b32 vcc_lo, exec_lo, s16
	s_cbranch_vccz .LBB6_468
; %bb.467:
	global_load_ubyte v2, v[0:1], off
	s_waitcnt vmcnt(0)
	v_lshlrev_b32_e32 v2, 24, v2
	v_and_b32_e32 v3, 0x7f000000, v2
	v_ffbh_u32_e32 v4, v3
	v_add_nc_u32_e32 v6, 0x1000000, v3
	v_cmp_ne_u32_e32 vcc_lo, 0, v3
	v_min_u32_e32 v4, 32, v4
	v_sub_nc_u32_e64 v4, v4, 4 clamp
	v_lshlrev_b32_e32 v5, v4, v3
	v_lshlrev_b32_e32 v4, 23, v4
	v_lshrrev_b32_e32 v5, 4, v5
	v_sub_nc_u32_e32 v4, v5, v4
	v_ashrrev_i32_e32 v5, 8, v6
	v_add_nc_u32_e32 v4, 0x3c000000, v4
	v_and_or_b32 v4, 0x7f800000, v5, v4
	v_cndmask_b32_e32 v3, 0, v4, vcc_lo
	v_and_or_b32 v2, 0x80000000, v2, v3
	v_cvt_f64_f32_e32 v[2:3], v2
.LBB6_468:
	s_mov_b32 s16, 0
.LBB6_469:
	s_andn2_b32 vcc_lo, exec_lo, s16
	s_cbranch_vccnz .LBB6_471
; %bb.470:
	global_load_ubyte v2, v[0:1], off
	s_waitcnt vmcnt(0)
	v_lshlrev_b32_e32 v3, 25, v2
	v_lshlrev_b16 v2, 8, v2
	v_lshrrev_b32_e32 v4, 4, v3
	v_and_or_b32 v5, 0x7f00, v2, 0.5
	v_cmp_gt_u32_e32 vcc_lo, 0x8000000, v3
	v_bfe_i32 v2, v2, 0, 16
	v_or_b32_e32 v4, 0x70000000, v4
	v_add_f32_e32 v5, -0.5, v5
	v_mul_f32_e32 v4, 0x7800000, v4
	v_cndmask_b32_e32 v3, v4, v5, vcc_lo
	v_and_or_b32 v2, 0x80000000, v2, v3
	v_cvt_f64_f32_e32 v[2:3], v2
.LBB6_471:
	s_mov_b32 s18, 0
	s_mov_b32 s16, -1
.LBB6_472:
	s_andn2_b32 vcc_lo, exec_lo, s18
	s_cbranch_vccnz .LBB6_483
; %bb.473:
	s_cmp_gt_i32 s0, 14
	s_cbranch_scc0 .LBB6_476
; %bb.474:
	s_cmp_eq_u32 s0, 15
	s_cbranch_scc0 .LBB6_477
; %bb.475:
	global_load_ushort v2, v[0:1], off
	s_mov_b32 s16, -1
	s_mov_b32 s15, 0
	s_waitcnt vmcnt(0)
	v_lshlrev_b32_e32 v2, 16, v2
	v_cvt_f64_f32_e32 v[2:3], v2
	s_branch .LBB6_478
.LBB6_476:
	s_mov_b32 s18, -1
                                        ; implicit-def: $vgpr2_vgpr3
	s_branch .LBB6_479
.LBB6_477:
	s_mov_b32 s15, -1
                                        ; implicit-def: $vgpr2_vgpr3
.LBB6_478:
	s_mov_b32 s18, 0
.LBB6_479:
	s_and_b32 vcc_lo, exec_lo, s18
	s_cbranch_vccz .LBB6_483
; %bb.480:
	s_cmp_eq_u32 s0, 11
	s_cbranch_scc0 .LBB6_482
; %bb.481:
	global_load_ubyte v2, v[0:1], off
	s_mov_b32 s15, 0
	s_mov_b32 s16, -1
	s_waitcnt vmcnt(0)
	v_cmp_ne_u16_e32 vcc_lo, 0, v2
	v_mov_b32_e32 v2, 0
	v_cndmask_b32_e64 v3, 0, 0x3ff00000, vcc_lo
	s_branch .LBB6_483
.LBB6_482:
	s_mov_b32 s15, -1
                                        ; implicit-def: $vgpr2_vgpr3
.LBB6_483:
	s_branch .LBB6_275
.LBB6_484:
	s_cmp_lt_i32 s0, 5
	s_cbranch_scc1 .LBB6_489
; %bb.485:
	s_cmp_lt_i32 s0, 8
	s_cbranch_scc1 .LBB6_490
; %bb.486:
	;; [unrolled: 3-line block ×3, first 2 shown]
	s_cmp_gt_i32 s0, 9
	s_cbranch_scc0 .LBB6_492
; %bb.488:
	global_load_dwordx2 v[2:3], v[0:1], off
	s_mov_b32 s16, 0
	s_branch .LBB6_493
.LBB6_489:
	s_mov_b32 s16, -1
                                        ; implicit-def: $vgpr2_vgpr3
	s_branch .LBB6_511
.LBB6_490:
	s_mov_b32 s16, -1
                                        ; implicit-def: $vgpr2_vgpr3
	s_branch .LBB6_499
.LBB6_491:
	s_mov_b32 s16, -1
                                        ; implicit-def: $vgpr2_vgpr3
	s_branch .LBB6_496
.LBB6_492:
	s_mov_b32 s16, -1
                                        ; implicit-def: $vgpr2_vgpr3
.LBB6_493:
	s_andn2_b32 vcc_lo, exec_lo, s16
	s_cbranch_vccnz .LBB6_495
; %bb.494:
	global_load_dword v2, v[0:1], off
	s_waitcnt vmcnt(0)
	v_cvt_f64_f32_e32 v[2:3], v2
.LBB6_495:
	s_mov_b32 s16, 0
.LBB6_496:
	s_andn2_b32 vcc_lo, exec_lo, s16
	s_cbranch_vccnz .LBB6_498
; %bb.497:
	global_load_dword v2, v[0:1], off
	s_waitcnt vmcnt(0)
	v_cvt_f32_f16_e32 v2, v2
	v_cvt_f64_f32_e32 v[2:3], v2
.LBB6_498:
	s_mov_b32 s16, 0
.LBB6_499:
	s_andn2_b32 vcc_lo, exec_lo, s16
	s_cbranch_vccnz .LBB6_510
; %bb.500:
	s_cmp_lt_i32 s0, 6
	s_cbranch_scc1 .LBB6_503
; %bb.501:
	s_cmp_gt_i32 s0, 6
	s_cbranch_scc0 .LBB6_504
; %bb.502:
	global_load_dwordx2 v[2:3], v[0:1], off
	s_mov_b32 s16, 0
	s_branch .LBB6_505
.LBB6_503:
	s_mov_b32 s16, -1
                                        ; implicit-def: $vgpr2_vgpr3
	s_branch .LBB6_508
.LBB6_504:
	s_mov_b32 s16, -1
                                        ; implicit-def: $vgpr2_vgpr3
.LBB6_505:
	s_andn2_b32 vcc_lo, exec_lo, s16
	s_cbranch_vccnz .LBB6_507
; %bb.506:
	global_load_dword v2, v[0:1], off
	s_waitcnt vmcnt(0)
	v_cvt_f64_f32_e32 v[2:3], v2
.LBB6_507:
	s_mov_b32 s16, 0
.LBB6_508:
	s_andn2_b32 vcc_lo, exec_lo, s16
	s_cbranch_vccnz .LBB6_510
; %bb.509:
	global_load_ushort v2, v[0:1], off
	s_waitcnt vmcnt(0)
	v_cvt_f32_f16_e32 v2, v2
	v_cvt_f64_f32_e32 v[2:3], v2
.LBB6_510:
	s_mov_b32 s16, 0
.LBB6_511:
	s_andn2_b32 vcc_lo, exec_lo, s16
	s_cbranch_vccnz .LBB6_531
; %bb.512:
	s_cmp_lt_i32 s0, 2
	s_cbranch_scc1 .LBB6_516
; %bb.513:
	s_cmp_lt_i32 s0, 3
	s_cbranch_scc1 .LBB6_517
; %bb.514:
	s_cmp_gt_i32 s0, 3
	s_cbranch_scc0 .LBB6_518
; %bb.515:
	global_load_dwordx2 v[2:3], v[0:1], off
	s_mov_b32 s16, 0
	s_waitcnt vmcnt(0)
	v_cvt_f64_i32_e32 v[3:4], v3
	v_cvt_f64_u32_e32 v[5:6], v2
	v_ldexp_f64 v[3:4], v[3:4], 32
	v_add_f64 v[2:3], v[3:4], v[5:6]
	s_branch .LBB6_519
.LBB6_516:
	s_mov_b32 s16, -1
                                        ; implicit-def: $vgpr2_vgpr3
	s_branch .LBB6_525
.LBB6_517:
	s_mov_b32 s16, -1
                                        ; implicit-def: $vgpr2_vgpr3
	s_branch .LBB6_522
.LBB6_518:
	s_mov_b32 s16, -1
                                        ; implicit-def: $vgpr2_vgpr3
.LBB6_519:
	s_andn2_b32 vcc_lo, exec_lo, s16
	s_cbranch_vccnz .LBB6_521
; %bb.520:
	global_load_dword v2, v[0:1], off
	s_waitcnt vmcnt(0)
	v_cvt_f64_i32_e32 v[2:3], v2
.LBB6_521:
	s_mov_b32 s16, 0
.LBB6_522:
	s_andn2_b32 vcc_lo, exec_lo, s16
	s_cbranch_vccnz .LBB6_524
; %bb.523:
	global_load_sshort v2, v[0:1], off
	s_waitcnt vmcnt(0)
	v_cvt_f64_i32_e32 v[2:3], v2
.LBB6_524:
	s_mov_b32 s16, 0
.LBB6_525:
	s_andn2_b32 vcc_lo, exec_lo, s16
	s_cbranch_vccnz .LBB6_531
; %bb.526:
	s_cmp_gt_i32 s0, 0
	s_mov_b32 s0, 0
	s_cbranch_scc0 .LBB6_528
; %bb.527:
	global_load_sbyte v2, v[0:1], off
	s_waitcnt vmcnt(0)
	v_cvt_f64_i32_e32 v[2:3], v2
	s_branch .LBB6_529
.LBB6_528:
	s_mov_b32 s0, -1
                                        ; implicit-def: $vgpr2_vgpr3
.LBB6_529:
	s_andn2_b32 vcc_lo, exec_lo, s0
	s_cbranch_vccnz .LBB6_531
; %bb.530:
	global_load_ubyte v0, v[0:1], off
	s_waitcnt vmcnt(0)
	v_cvt_f64_u32_e32 v[2:3], v0
.LBB6_531:
	s_branch .LBB6_276
.LBB6_532:
	s_mov_b32 s18, 0
	s_mov_b32 s0, s7
.LBB6_533:
                                        ; implicit-def: $vgpr14
.LBB6_534:
	s_andn2_b32 s16, s7, exec_lo
	s_and_b32 s0, s0, exec_lo
	s_andn2_b32 s19, s13, exec_lo
	s_and_b32 s15, s15, exec_lo
	s_or_b32 s16, s16, s0
	s_or_b32 s15, s19, s15
	s_orn2_b32 s0, s18, exec_lo
.LBB6_535:
	s_or_b32 exec_lo, exec_lo, s17
	s_mov_b32 s18, 0
	s_mov_b32 s19, 0
	;; [unrolled: 1-line block ×3, first 2 shown]
                                        ; implicit-def: $vgpr0_vgpr1
                                        ; implicit-def: $vgpr2_vgpr3
	s_and_saveexec_b32 s17, s0
	s_cbranch_execz .LBB6_892
; %bb.536:
	s_mov_b32 s20, -1
	s_mov_b32 s0, s15
	s_mov_b32 s19, s16
	s_mov_b32 s18, exec_lo
	v_cmpx_gt_i32_e64 s12, v14
	s_cbranch_execz .LBB6_806
; %bb.537:
	v_mul_lo_u32 v0, v14, s3
	s_and_b32 s0, 0xffff, s5
	s_cmp_lt_i32 s0, 11
	v_ashrrev_i32_e32 v1, 31, v0
	v_add_co_u32 v0, vcc_lo, s10, v0
	v_add_co_ci_u32_e64 v1, null, s11, v1, vcc_lo
	s_cbranch_scc1 .LBB6_544
; %bb.538:
	s_cmp_gt_i32 s0, 25
	s_cbranch_scc0 .LBB6_545
; %bb.539:
	s_cmp_gt_i32 s0, 28
	s_cbranch_scc0 .LBB6_546
	;; [unrolled: 3-line block ×4, first 2 shown]
; %bb.542:
	s_cmp_eq_u32 s0, 46
	s_mov_b32 s21, 0
	s_cbranch_scc0 .LBB6_553
; %bb.543:
	global_load_dword v2, v[0:1], off
	s_mov_b32 s19, 0
	s_waitcnt vmcnt(0)
	v_lshlrev_b32_e32 v2, 16, v2
	v_cvt_f64_f32_e32 v[2:3], v2
	s_branch .LBB6_555
.LBB6_544:
	s_mov_b32 s21, -1
	s_mov_b32 s20, 0
	s_mov_b32 s19, s15
                                        ; implicit-def: $vgpr2_vgpr3
	s_branch .LBB6_620
.LBB6_545:
	s_mov_b32 s21, -1
	s_mov_b32 s20, 0
	s_mov_b32 s19, s15
                                        ; implicit-def: $vgpr2_vgpr3
	s_branch .LBB6_586
.LBB6_546:
	s_mov_b32 s21, -1
	s_mov_b32 s20, 0
	s_mov_b32 s19, s15
                                        ; implicit-def: $vgpr2_vgpr3
	s_branch .LBB6_565
.LBB6_547:
	s_mov_b32 s21, -1
	s_mov_b32 s20, 0
	s_mov_b32 s19, s15
                                        ; implicit-def: $vgpr2_vgpr3
	s_branch .LBB6_560
.LBB6_548:
	s_andn2_saveexec_b32 s21, s21
	s_cbranch_execz .LBB6_332
.LBB6_549:
	v_add_f32_e64 v3, 0x46000000, |v2|
	s_andn2_b32 s20, s20, exec_lo
	v_and_b32_e32 v3, 0xff, v3
	v_cmp_ne_u32_e32 vcc_lo, 0, v3
	s_and_b32 s22, vcc_lo, exec_lo
	s_or_b32 s20, s20, s22
	s_or_b32 exec_lo, exec_lo, s21
	v_mov_b32_e32 v6, 0
	s_and_saveexec_b32 s21, s20
	s_cbranch_execnz .LBB6_333
	s_branch .LBB6_334
.LBB6_550:
	s_mov_b32 s21, -1
	s_mov_b32 s20, 0
	s_mov_b32 s19, s15
	s_branch .LBB6_554
.LBB6_551:
	s_andn2_saveexec_b32 s21, s21
	s_cbranch_execz .LBB6_345
.LBB6_552:
	v_add_f32_e64 v3, 0x42800000, |v2|
	s_andn2_b32 s20, s20, exec_lo
	v_and_b32_e32 v3, 0xff, v3
	v_cmp_ne_u32_e32 vcc_lo, 0, v3
	s_and_b32 s22, vcc_lo, exec_lo
	s_or_b32 s20, s20, s22
	s_or_b32 exec_lo, exec_lo, s21
	v_mov_b32_e32 v6, 0
	s_and_saveexec_b32 s21, s20
	s_cbranch_execnz .LBB6_346
	s_branch .LBB6_347
.LBB6_553:
	s_mov_b32 s19, -1
	s_mov_b32 s20, 0
.LBB6_554:
                                        ; implicit-def: $vgpr2_vgpr3
.LBB6_555:
	s_and_b32 vcc_lo, exec_lo, s21
	s_cbranch_vccz .LBB6_559
; %bb.556:
	s_cmp_eq_u32 s0, 44
	s_cbranch_scc0 .LBB6_558
; %bb.557:
	global_load_ubyte v4, v[0:1], off
	s_mov_b32 s19, 0
	s_mov_b32 s20, -1
	s_waitcnt vmcnt(0)
	v_lshlrev_b32_e32 v2, 23, v4
	v_cmp_ne_u32_e32 vcc_lo, 0xff, v4
	v_cvt_f64_f32_e32 v[2:3], v2
	v_cndmask_b32_e32 v2, 0x20000000, v2, vcc_lo
	v_cndmask_b32_e32 v3, 0x7ff80000, v3, vcc_lo
	v_cmp_ne_u32_e32 vcc_lo, 0, v4
	v_cndmask_b32_e32 v3, 0x38000000, v3, vcc_lo
	v_cndmask_b32_e32 v2, 0, v2, vcc_lo
	s_branch .LBB6_559
.LBB6_558:
	s_mov_b32 s19, -1
                                        ; implicit-def: $vgpr2_vgpr3
.LBB6_559:
	s_mov_b32 s21, 0
.LBB6_560:
	s_and_b32 vcc_lo, exec_lo, s21
	s_cbranch_vccz .LBB6_564
; %bb.561:
	s_cmp_eq_u32 s0, 29
	s_cbranch_scc0 .LBB6_563
; %bb.562:
	global_load_dwordx2 v[2:3], v[0:1], off
	s_mov_b32 s20, -1
	s_mov_b32 s19, 0
	s_mov_b32 s21, 0
	s_waitcnt vmcnt(0)
	v_cvt_f64_u32_e32 v[3:4], v3
	v_cvt_f64_u32_e32 v[5:6], v2
	v_ldexp_f64 v[3:4], v[3:4], 32
	v_add_f64 v[2:3], v[3:4], v[5:6]
	s_branch .LBB6_565
.LBB6_563:
	s_mov_b32 s19, -1
                                        ; implicit-def: $vgpr2_vgpr3
.LBB6_564:
	s_mov_b32 s21, 0
.LBB6_565:
	s_and_b32 vcc_lo, exec_lo, s21
	s_cbranch_vccz .LBB6_585
; %bb.566:
	s_cmp_lt_i32 s0, 27
	s_cbranch_scc1 .LBB6_569
; %bb.567:
	s_cmp_gt_i32 s0, 27
	s_cbranch_scc0 .LBB6_570
; %bb.568:
	global_load_dword v2, v[0:1], off
	s_mov_b32 s20, 0
	s_waitcnt vmcnt(0)
	v_cvt_f64_u32_e32 v[2:3], v2
	s_branch .LBB6_571
.LBB6_569:
	s_mov_b32 s20, -1
                                        ; implicit-def: $vgpr2_vgpr3
	s_branch .LBB6_574
.LBB6_570:
	s_mov_b32 s20, -1
                                        ; implicit-def: $vgpr2_vgpr3
.LBB6_571:
	s_andn2_b32 vcc_lo, exec_lo, s20
	s_cbranch_vccnz .LBB6_573
; %bb.572:
	global_load_ushort v2, v[0:1], off
	s_waitcnt vmcnt(0)
	v_cvt_f64_u32_e32 v[2:3], v2
.LBB6_573:
	s_mov_b32 s20, 0
.LBB6_574:
	s_andn2_b32 vcc_lo, exec_lo, s20
	s_cbranch_vccnz .LBB6_584
; %bb.575:
	global_load_ubyte v4, v[0:1], off
	s_mov_b32 s20, 0
	s_mov_b32 s21, exec_lo
	s_waitcnt vmcnt(0)
	v_cmpx_lt_i16_e32 0x7f, v4
	s_xor_b32 s21, exec_lo, s21
	s_cbranch_execz .LBB6_579
; %bb.576:
	s_mov_b32 s20, -1
	s_mov_b32 s22, exec_lo
	v_cmpx_eq_u16_e32 0x80, v4
; %bb.577:
	s_xor_b32 s20, exec_lo, -1
; %bb.578:
	s_or_b32 exec_lo, exec_lo, s22
	s_and_b32 s20, s20, exec_lo
.LBB6_579:
	s_or_saveexec_b32 s21, s21
	v_bfrev_b32_e32 v2, 4
	v_mov_b32_e32 v3, 0x7ff80000
	s_xor_b32 exec_lo, exec_lo, s21
; %bb.580:
	v_cmp_ne_u16_e32 vcc_lo, 0, v4
	v_mov_b32_e32 v2, 0
	v_mov_b32_e32 v3, 0
	s_andn2_b32 s20, s20, exec_lo
	s_and_b32 s22, vcc_lo, exec_lo
	s_or_b32 s20, s20, s22
; %bb.581:
	s_or_b32 exec_lo, exec_lo, s21
	s_and_saveexec_b32 s21, s20
	s_cbranch_execz .LBB6_583
; %bb.582:
	v_and_b32_e32 v2, 0xffff, v4
	v_lshlrev_b32_e32 v4, 24, v4
	v_and_b32_e32 v3, 7, v2
	v_bfe_u32 v7, v2, 3, 4
	v_ffbh_u32_e32 v5, v3
	v_cmp_eq_u32_e32 vcc_lo, 0, v7
	v_min_u32_e32 v5, 32, v5
	v_subrev_nc_u32_e32 v6, 28, v5
	v_sub_nc_u32_e32 v5, 29, v5
	v_lshlrev_b32_e32 v2, v6, v2
	v_cndmask_b32_e32 v5, v7, v5, vcc_lo
	v_and_b32_e32 v2, 7, v2
	v_cndmask_b32_e32 v2, v3, v2, vcc_lo
	v_and_b32_e32 v3, 0x80000000, v4
	v_lshl_add_u32 v4, v5, 23, 0x3b800000
	v_lshlrev_b32_e32 v2, 20, v2
	v_or3_b32 v2, v3, v4, v2
	v_cvt_f64_f32_e32 v[2:3], v2
.LBB6_583:
	s_or_b32 exec_lo, exec_lo, s21
.LBB6_584:
	s_mov_b32 s20, -1
.LBB6_585:
	s_mov_b32 s21, 0
.LBB6_586:
	s_and_b32 vcc_lo, exec_lo, s21
	s_cbranch_vccz .LBB6_619
; %bb.587:
	s_cmp_gt_i32 s0, 22
	s_cbranch_scc0 .LBB6_599
; %bb.588:
	s_cmp_lt_i32 s0, 24
	s_cbranch_scc1 .LBB6_600
; %bb.589:
	s_cmp_gt_i32 s0, 24
	s_cbranch_scc0 .LBB6_601
; %bb.590:
	global_load_ubyte v4, v[0:1], off
	s_mov_b32 s20, 0
	s_mov_b32 s21, exec_lo
	s_waitcnt vmcnt(0)
	v_cmpx_lt_i16_e32 0x7f, v4
	s_xor_b32 s21, exec_lo, s21
	s_cbranch_execz .LBB6_594
; %bb.591:
	s_mov_b32 s20, -1
	s_mov_b32 s22, exec_lo
	v_cmpx_eq_u16_e32 0x80, v4
; %bb.592:
	s_xor_b32 s20, exec_lo, -1
; %bb.593:
	s_or_b32 exec_lo, exec_lo, s22
	s_and_b32 s20, s20, exec_lo
.LBB6_594:
	s_or_saveexec_b32 s21, s21
	v_bfrev_b32_e32 v2, 4
	v_mov_b32_e32 v3, 0x7ff80000
	s_xor_b32 exec_lo, exec_lo, s21
; %bb.595:
	v_cmp_ne_u16_e32 vcc_lo, 0, v4
	v_mov_b32_e32 v2, 0
	v_mov_b32_e32 v3, 0
	s_andn2_b32 s20, s20, exec_lo
	s_and_b32 s22, vcc_lo, exec_lo
	s_or_b32 s20, s20, s22
; %bb.596:
	s_or_b32 exec_lo, exec_lo, s21
	s_and_saveexec_b32 s21, s20
	s_cbranch_execz .LBB6_598
; %bb.597:
	v_and_b32_e32 v2, 0xffff, v4
	v_lshlrev_b32_e32 v4, 24, v4
	v_and_b32_e32 v3, 3, v2
	v_bfe_u32 v7, v2, 2, 5
	v_ffbh_u32_e32 v5, v3
	v_cmp_eq_u32_e32 vcc_lo, 0, v7
	v_min_u32_e32 v5, 32, v5
	v_subrev_nc_u32_e32 v6, 29, v5
	v_sub_nc_u32_e32 v5, 30, v5
	v_lshlrev_b32_e32 v2, v6, v2
	v_cndmask_b32_e32 v5, v7, v5, vcc_lo
	v_and_b32_e32 v2, 3, v2
	v_cndmask_b32_e32 v2, v3, v2, vcc_lo
	v_and_b32_e32 v3, 0x80000000, v4
	v_lshl_add_u32 v4, v5, 23, 0x37800000
	v_lshlrev_b32_e32 v2, 21, v2
	v_or3_b32 v2, v3, v4, v2
	v_cvt_f64_f32_e32 v[2:3], v2
.LBB6_598:
	s_or_b32 exec_lo, exec_lo, s21
	s_mov_b32 s20, 0
	s_branch .LBB6_602
.LBB6_599:
	s_mov_b32 s21, -1
                                        ; implicit-def: $vgpr2_vgpr3
	s_branch .LBB6_608
.LBB6_600:
	s_mov_b32 s20, -1
                                        ; implicit-def: $vgpr2_vgpr3
	s_branch .LBB6_605
.LBB6_601:
	s_mov_b32 s20, -1
                                        ; implicit-def: $vgpr2_vgpr3
.LBB6_602:
	s_and_b32 vcc_lo, exec_lo, s20
	s_cbranch_vccz .LBB6_604
; %bb.603:
	global_load_ubyte v2, v[0:1], off
	s_waitcnt vmcnt(0)
	v_lshlrev_b32_e32 v2, 24, v2
	v_and_b32_e32 v3, 0x7f000000, v2
	v_ffbh_u32_e32 v4, v3
	v_add_nc_u32_e32 v6, 0x1000000, v3
	v_cmp_ne_u32_e32 vcc_lo, 0, v3
	v_min_u32_e32 v4, 32, v4
	v_sub_nc_u32_e64 v4, v4, 4 clamp
	v_lshlrev_b32_e32 v5, v4, v3
	v_lshlrev_b32_e32 v4, 23, v4
	v_lshrrev_b32_e32 v5, 4, v5
	v_sub_nc_u32_e32 v4, v5, v4
	v_ashrrev_i32_e32 v5, 8, v6
	v_add_nc_u32_e32 v4, 0x3c000000, v4
	v_and_or_b32 v4, 0x7f800000, v5, v4
	v_cndmask_b32_e32 v3, 0, v4, vcc_lo
	v_and_or_b32 v2, 0x80000000, v2, v3
	v_cvt_f64_f32_e32 v[2:3], v2
.LBB6_604:
	s_mov_b32 s20, 0
.LBB6_605:
	s_andn2_b32 vcc_lo, exec_lo, s20
	s_cbranch_vccnz .LBB6_607
; %bb.606:
	global_load_ubyte v2, v[0:1], off
	s_waitcnt vmcnt(0)
	v_lshlrev_b32_e32 v3, 25, v2
	v_lshlrev_b16 v2, 8, v2
	v_lshrrev_b32_e32 v4, 4, v3
	v_and_or_b32 v5, 0x7f00, v2, 0.5
	v_cmp_gt_u32_e32 vcc_lo, 0x8000000, v3
	v_bfe_i32 v2, v2, 0, 16
	v_or_b32_e32 v4, 0x70000000, v4
	v_add_f32_e32 v5, -0.5, v5
	v_mul_f32_e32 v4, 0x7800000, v4
	v_cndmask_b32_e32 v3, v4, v5, vcc_lo
	v_and_or_b32 v2, 0x80000000, v2, v3
	v_cvt_f64_f32_e32 v[2:3], v2
.LBB6_607:
	s_mov_b32 s21, 0
	s_mov_b32 s20, -1
.LBB6_608:
	s_andn2_b32 vcc_lo, exec_lo, s21
	s_cbranch_vccnz .LBB6_619
; %bb.609:
	s_cmp_gt_i32 s0, 14
	s_cbranch_scc0 .LBB6_612
; %bb.610:
	s_cmp_eq_u32 s0, 15
	s_cbranch_scc0 .LBB6_613
; %bb.611:
	global_load_ushort v2, v[0:1], off
	s_mov_b32 s20, -1
	s_mov_b32 s19, 0
	s_waitcnt vmcnt(0)
	v_lshlrev_b32_e32 v2, 16, v2
	v_cvt_f64_f32_e32 v[2:3], v2
	s_branch .LBB6_614
.LBB6_612:
	s_mov_b32 s21, -1
                                        ; implicit-def: $vgpr2_vgpr3
	s_branch .LBB6_615
.LBB6_613:
	s_mov_b32 s19, -1
                                        ; implicit-def: $vgpr2_vgpr3
.LBB6_614:
	s_mov_b32 s21, 0
.LBB6_615:
	s_and_b32 vcc_lo, exec_lo, s21
	s_cbranch_vccz .LBB6_619
; %bb.616:
	s_cmp_eq_u32 s0, 11
	s_cbranch_scc0 .LBB6_618
; %bb.617:
	global_load_ubyte v2, v[0:1], off
	s_mov_b32 s19, 0
	s_mov_b32 s20, -1
	s_waitcnt vmcnt(0)
	v_cmp_ne_u16_e32 vcc_lo, 0, v2
	v_mov_b32_e32 v2, 0
	v_cndmask_b32_e64 v3, 0, 0x3ff00000, vcc_lo
	s_branch .LBB6_619
.LBB6_618:
	s_mov_b32 s19, -1
                                        ; implicit-def: $vgpr2_vgpr3
.LBB6_619:
	s_mov_b32 s21, 0
.LBB6_620:
	s_and_b32 vcc_lo, exec_lo, s21
	s_cbranch_vccz .LBB6_669
; %bb.621:
	s_cmp_lt_i32 s0, 5
	s_cbranch_scc1 .LBB6_626
; %bb.622:
	s_cmp_lt_i32 s0, 8
	s_cbranch_scc1 .LBB6_627
	;; [unrolled: 3-line block ×3, first 2 shown]
; %bb.624:
	s_cmp_gt_i32 s0, 9
	s_cbranch_scc0 .LBB6_629
; %bb.625:
	global_load_dwordx2 v[2:3], v[0:1], off
	s_mov_b32 s20, 0
	s_branch .LBB6_630
.LBB6_626:
	s_mov_b32 s20, -1
                                        ; implicit-def: $vgpr2_vgpr3
	s_branch .LBB6_648
.LBB6_627:
	s_mov_b32 s20, -1
                                        ; implicit-def: $vgpr2_vgpr3
	s_branch .LBB6_636
.LBB6_628:
	s_mov_b32 s20, -1
                                        ; implicit-def: $vgpr2_vgpr3
	s_branch .LBB6_633
.LBB6_629:
	s_mov_b32 s20, -1
                                        ; implicit-def: $vgpr2_vgpr3
.LBB6_630:
	s_andn2_b32 vcc_lo, exec_lo, s20
	s_cbranch_vccnz .LBB6_632
; %bb.631:
	global_load_dword v2, v[0:1], off
	s_waitcnt vmcnt(0)
	v_cvt_f64_f32_e32 v[2:3], v2
.LBB6_632:
	s_mov_b32 s20, 0
.LBB6_633:
	s_andn2_b32 vcc_lo, exec_lo, s20
	s_cbranch_vccnz .LBB6_635
; %bb.634:
	global_load_dword v2, v[0:1], off
	s_waitcnt vmcnt(0)
	v_cvt_f32_f16_e32 v2, v2
	v_cvt_f64_f32_e32 v[2:3], v2
.LBB6_635:
	s_mov_b32 s20, 0
.LBB6_636:
	s_andn2_b32 vcc_lo, exec_lo, s20
	s_cbranch_vccnz .LBB6_647
; %bb.637:
	s_cmp_lt_i32 s0, 6
	s_cbranch_scc1 .LBB6_640
; %bb.638:
	s_cmp_gt_i32 s0, 6
	s_cbranch_scc0 .LBB6_641
; %bb.639:
	global_load_dwordx2 v[2:3], v[0:1], off
	s_mov_b32 s20, 0
	s_branch .LBB6_642
.LBB6_640:
	s_mov_b32 s20, -1
                                        ; implicit-def: $vgpr2_vgpr3
	s_branch .LBB6_645
.LBB6_641:
	s_mov_b32 s20, -1
                                        ; implicit-def: $vgpr2_vgpr3
.LBB6_642:
	s_andn2_b32 vcc_lo, exec_lo, s20
	s_cbranch_vccnz .LBB6_644
; %bb.643:
	global_load_dword v2, v[0:1], off
	s_waitcnt vmcnt(0)
	v_cvt_f64_f32_e32 v[2:3], v2
.LBB6_644:
	s_mov_b32 s20, 0
.LBB6_645:
	s_andn2_b32 vcc_lo, exec_lo, s20
	s_cbranch_vccnz .LBB6_647
; %bb.646:
	global_load_ushort v2, v[0:1], off
	s_waitcnt vmcnt(0)
	v_cvt_f32_f16_e32 v2, v2
	v_cvt_f64_f32_e32 v[2:3], v2
.LBB6_647:
	s_mov_b32 s20, 0
.LBB6_648:
	s_andn2_b32 vcc_lo, exec_lo, s20
	s_cbranch_vccnz .LBB6_668
; %bb.649:
	s_cmp_lt_i32 s0, 2
	s_cbranch_scc1 .LBB6_653
; %bb.650:
	s_cmp_lt_i32 s0, 3
	s_cbranch_scc1 .LBB6_654
; %bb.651:
	s_cmp_gt_i32 s0, 3
	s_cbranch_scc0 .LBB6_655
; %bb.652:
	global_load_dwordx2 v[2:3], v[0:1], off
	s_mov_b32 s20, 0
	s_waitcnt vmcnt(0)
	v_cvt_f64_i32_e32 v[3:4], v3
	v_cvt_f64_u32_e32 v[5:6], v2
	v_ldexp_f64 v[3:4], v[3:4], 32
	v_add_f64 v[2:3], v[3:4], v[5:6]
	s_branch .LBB6_656
.LBB6_653:
	s_mov_b32 s20, -1
                                        ; implicit-def: $vgpr2_vgpr3
	s_branch .LBB6_662
.LBB6_654:
	s_mov_b32 s20, -1
                                        ; implicit-def: $vgpr2_vgpr3
	s_branch .LBB6_659
.LBB6_655:
	s_mov_b32 s20, -1
                                        ; implicit-def: $vgpr2_vgpr3
.LBB6_656:
	s_andn2_b32 vcc_lo, exec_lo, s20
	s_cbranch_vccnz .LBB6_658
; %bb.657:
	global_load_dword v2, v[0:1], off
	s_waitcnt vmcnt(0)
	v_cvt_f64_i32_e32 v[2:3], v2
.LBB6_658:
	s_mov_b32 s20, 0
.LBB6_659:
	s_andn2_b32 vcc_lo, exec_lo, s20
	s_cbranch_vccnz .LBB6_661
; %bb.660:
	global_load_sshort v2, v[0:1], off
	s_waitcnt vmcnt(0)
	v_cvt_f64_i32_e32 v[2:3], v2
.LBB6_661:
	s_mov_b32 s20, 0
.LBB6_662:
	s_andn2_b32 vcc_lo, exec_lo, s20
	s_cbranch_vccnz .LBB6_668
; %bb.663:
	s_cmp_gt_i32 s0, 0
	s_mov_b32 s0, 0
	s_cbranch_scc0 .LBB6_665
; %bb.664:
	global_load_sbyte v2, v[0:1], off
	s_waitcnt vmcnt(0)
	v_cvt_f64_i32_e32 v[2:3], v2
	s_branch .LBB6_666
.LBB6_665:
	s_mov_b32 s0, -1
                                        ; implicit-def: $vgpr2_vgpr3
.LBB6_666:
	s_andn2_b32 vcc_lo, exec_lo, s0
	s_cbranch_vccnz .LBB6_668
; %bb.667:
	global_load_ubyte v0, v[0:1], off
	s_waitcnt vmcnt(0)
	v_cvt_f64_u32_e32 v[2:3], v0
.LBB6_668:
	s_mov_b32 s20, -1
.LBB6_669:
	s_andn2_b32 vcc_lo, exec_lo, s20
	s_cbranch_vccnz .LBB6_687
; %bb.670:
	v_mov_b32_e32 v0, 0
	v_mov_b32_e32 v1, 0
	s_mov_b32 s20, exec_lo
	s_waitcnt vmcnt(0)
	v_cmpx_neq_f64_e64 0x7ff00000, |v[2:3]|
	s_cbranch_execz .LBB6_680
; %bb.671:
	s_mov_b32 s21, exec_lo
                                        ; implicit-def: $vgpr0_vgpr1
	v_cmpx_nlt_f64_e64 |v[2:3]|, 0.5
	s_xor_b32 s21, exec_lo, s21
	s_cbranch_execz .LBB6_677
; %bb.672:
	v_cmp_ngt_f64_e64 s0, 0x41d00000, |v[2:3]|
                                        ; implicit-def: $vgpr6
                                        ; implicit-def: $vgpr0_vgpr1
                                        ; implicit-def: $vgpr4_vgpr5
	s_and_saveexec_b32 s22, s0
	s_xor_b32 s0, exec_lo, s22
	s_cbranch_execz .LBB6_674
; %bb.673:
	v_ldexp_f64 v[0:1], |v[2:3]|, 0xffffff80
	v_cmp_le_f64_e64 vcc_lo, 0x7b000000, |v[2:3]|
	v_trig_preop_f64 v[4:5], |v[2:3]|, 0
	v_and_b32_e32 v6, 0x7fffffff, v3
	v_trig_preop_f64 v[17:18], |v[2:3]|, 2
	v_mov_b32_e32 v25, 0
	s_mov_b32 s22, 0x54442d18
	s_mov_b32 s23, 0x3ff921fb
	;; [unrolled: 1-line block ×4, first 2 shown]
	v_cndmask_b32_e32 v1, v6, v1, vcc_lo
	v_cndmask_b32_e32 v0, v2, v0, vcc_lo
	v_trig_preop_f64 v[6:7], |v[2:3]|, 1
	v_mul_f64 v[8:9], v[4:5], v[0:1]
	v_mul_f64 v[23:24], v[17:18], v[0:1]
	;; [unrolled: 1-line block ×3, first 2 shown]
	v_fma_f64 v[4:5], v[4:5], v[0:1], -v[8:9]
	v_fma_f64 v[6:7], v[6:7], v[0:1], -v[10:11]
	;; [unrolled: 1-line block ×3, first 2 shown]
	v_add_f64 v[12:13], v[10:11], v[4:5]
	v_add_f64 v[15:16], v[12:13], -v[10:11]
	v_add_f64 v[21:22], v[8:9], v[12:13]
	v_add_f64 v[19:20], v[12:13], -v[15:16]
	v_add_f64 v[4:5], v[4:5], -v[15:16]
	v_ldexp_f64 v[15:16], v[21:22], -2
	v_add_f64 v[8:9], v[21:22], -v[8:9]
	v_add_f64 v[10:11], v[10:11], -v[19:20]
	v_add_f64 v[19:20], v[23:24], v[6:7]
	v_cmp_neq_f64_e64 vcc_lo, 0x7ff00000, |v[15:16]|
	v_add_f64 v[8:9], v[12:13], -v[8:9]
	v_add_f64 v[4:5], v[4:5], v[10:11]
	v_fract_f64_e32 v[10:11], v[15:16]
	v_add_f64 v[12:13], v[19:20], v[4:5]
	v_ldexp_f64 v[10:11], v[10:11], 2
	v_add_f64 v[15:16], v[8:9], v[12:13]
	v_cndmask_b32_e32 v11, 0, v11, vcc_lo
	v_cndmask_b32_e32 v10, 0, v10, vcc_lo
	v_add_f64 v[21:22], v[15:16], v[10:11]
	v_add_f64 v[8:9], v[15:16], -v[8:9]
	v_cmp_gt_f64_e32 vcc_lo, 0, v[21:22]
	v_add_f64 v[21:22], v[19:20], -v[23:24]
	v_cndmask_b32_e64 v26, 0, 0x40100000, vcc_lo
	v_add_f64 v[30:31], v[19:20], -v[21:22]
	v_add_f64 v[6:7], v[6:7], -v[21:22]
	v_add_f64 v[10:11], v[10:11], v[25:26]
	v_add_f64 v[26:27], v[12:13], -v[19:20]
	v_add_f64 v[21:22], v[23:24], -v[30:31]
	v_add_f64 v[28:29], v[15:16], v[10:11]
	;; [unrolled: 3-line block ×3, first 2 shown]
	v_cvt_i32_f64_e32 v28, v[28:29]
	v_add_f64 v[19:20], v[19:20], -v[32:33]
	v_cvt_f64_i32_e32 v[26:27], v28
	v_add_f64 v[4:5], v[4:5], v[19:20]
	v_add_f64 v[10:11], v[10:11], -v[26:27]
	v_add_f64 v[4:5], v[6:7], v[4:5]
	v_add_f64 v[6:7], v[12:13], -v[8:9]
	v_add_f64 v[17:18], v[15:16], v[10:11]
	v_add_f64 v[0:1], v[0:1], v[4:5]
	v_add_f64 v[4:5], v[17:18], -v[10:11]
	v_cmp_le_f64_e32 vcc_lo, 0.5, v[17:18]
	v_add_f64 v[0:1], v[6:7], v[0:1]
	v_add_f64 v[4:5], v[15:16], -v[4:5]
	v_cndmask_b32_e64 v26, 0, 0x3ff00000, vcc_lo
	v_add_co_ci_u32_e64 v6, null, 0, v28, vcc_lo
	v_add_f64 v[0:1], v[0:1], v[4:5]
	v_add_f64 v[4:5], v[17:18], -v[25:26]
	v_add_f64 v[7:8], v[4:5], v[0:1]
	v_mul_f64 v[9:10], v[7:8], s[22:23]
	v_add_f64 v[4:5], v[7:8], -v[4:5]
	v_fma_f64 v[11:12], v[7:8], s[22:23], -v[9:10]
	v_add_f64 v[0:1], v[0:1], -v[4:5]
	v_fma_f64 v[4:5], v[7:8], s[24:25], v[11:12]
	v_fma_f64 v[4:5], v[0:1], s[22:23], v[4:5]
	v_add_f64 v[0:1], v[9:10], v[4:5]
	v_add_f64 v[7:8], v[0:1], -v[9:10]
	v_add_f64 v[4:5], v[4:5], -v[7:8]
.LBB6_674:
	s_andn2_saveexec_b32 s0, s0
	s_cbranch_execz .LBB6_676
; %bb.675:
	s_mov_b32 s22, 0x6dc9c883
	s_mov_b32 s23, 0x3fe45f30
	;; [unrolled: 1-line block ×3, first 2 shown]
	v_mul_f64 v[0:1], |v[2:3]|, s[22:23]
	s_mov_b32 s22, 0x54442d18
	s_mov_b32 s23, 0xbff921fb
	;; [unrolled: 1-line block ×3, first 2 shown]
	v_rndne_f64_e32 v[6:7], v[0:1]
	v_fma_f64 v[0:1], v[6:7], s[22:23], |v[2:3]|
	v_mul_f64 v[4:5], v[6:7], s[24:25]
	s_mov_b32 s22, 0x252049c0
	s_mov_b32 s23, 0xb97b839a
	v_fma_f64 v[10:11], v[6:7], s[24:25], v[0:1]
	v_add_f64 v[8:9], v[0:1], v[4:5]
	s_mov_b32 s25, 0x3c91a626
	v_add_f64 v[0:1], v[0:1], -v[8:9]
	v_add_f64 v[8:9], v[8:9], -v[10:11]
	v_add_f64 v[0:1], v[0:1], v[4:5]
	v_fma_f64 v[4:5], v[6:7], s[24:25], v[4:5]
	v_add_f64 v[0:1], v[8:9], v[0:1]
	v_add_f64 v[0:1], v[0:1], -v[4:5]
	v_fma_f64 v[4:5], v[6:7], s[22:23], v[0:1]
	v_cvt_i32_f64_e32 v6, v[6:7]
	v_add_f64 v[0:1], v[10:11], v[4:5]
	v_add_f64 v[8:9], v[0:1], -v[10:11]
	v_add_f64 v[4:5], v[4:5], -v[8:9]
.LBB6_676:
	s_or_b32 exec_lo, exec_lo, s0
	v_mul_f64 v[7:8], v[0:1], v[0:1]
	s_mov_b32 s22, 0xb42fdfa7
	s_mov_b32 s24, 0xf9a43bb8
	;; [unrolled: 1-line block ×6, first 2 shown]
	v_mul_f64 v[19:20], v[4:5], 0.5
	v_cmp_class_f64_e64 s0, v[2:3], 0x1f8
	v_fma_f64 v[9:10], v[7:8], s[24:25], s[22:23]
	s_mov_b32 s22, 0x9037ab78
	s_mov_b32 s24, 0x46cc5e42
	;; [unrolled: 1-line block ×4, first 2 shown]
	v_mul_f64 v[15:16], v[7:8], 0.5
	v_fma_f64 v[11:12], v[7:8], s[24:25], s[22:23]
	s_mov_b32 s22, 0xa17f65f6
	s_mov_b32 s24, 0x19e83e5c
	;; [unrolled: 1-line block ×4, first 2 shown]
	v_mul_f64 v[21:22], v[0:1], -v[7:8]
	v_fma_f64 v[9:10], v[7:8], v[9:10], s[26:27]
	v_add_f64 v[17:18], -v[15:16], 1.0
	v_fma_f64 v[11:12], v[7:8], v[11:12], s[22:23]
	s_mov_b32 s22, 0x19f4ec90
	s_mov_b32 s23, 0x3efa01a0
	v_fma_f64 v[9:10], v[7:8], v[9:10], s[24:25]
	s_mov_b32 s24, 0x11110bb3
	s_mov_b32 s25, 0x3f811111
	v_add_f64 v[23:24], -v[17:18], 1.0
	v_fma_f64 v[11:12], v[7:8], v[11:12], s[22:23]
	s_mov_b32 s22, 0x16c16967
	s_mov_b32 s23, 0xbf56c16c
	v_fma_f64 v[9:10], v[7:8], v[9:10], s[24:25]
	v_add_f64 v[15:16], v[23:24], -v[15:16]
	v_fma_f64 v[11:12], v[7:8], v[11:12], s[22:23]
	s_mov_b32 s23, 0x3fa55555
	s_mov_b32 s22, 0x55555555
	v_fma_f64 v[9:10], v[21:22], v[9:10], v[19:20]
	v_mul_f64 v[19:20], v[7:8], v[7:8]
	v_fma_f64 v[15:16], v[0:1], -v[4:5], v[15:16]
	v_fma_f64 v[11:12], v[7:8], v[11:12], s[22:23]
	s_mov_b32 s23, 0xbfc55555
	v_fma_f64 v[4:5], v[7:8], v[9:10], -v[4:5]
	v_fma_f64 v[7:8], v[19:20], v[11:12], v[15:16]
	v_fma_f64 v[4:5], v[21:22], s[22:23], v[4:5]
	v_add_f64 v[7:8], v[17:18], v[7:8]
	v_add_f64 v[0:1], v[0:1], -v[4:5]
	v_and_b32_e32 v4, 1, v6
	v_cmp_eq_u32_e32 vcc_lo, 0, v4
	v_lshlrev_b32_e32 v4, 30, v6
	v_xor_b32_e32 v4, v4, v3
	v_and_b32_e32 v4, 0x80000000, v4
	v_cndmask_b32_e32 v1, v8, v1, vcc_lo
	v_cndmask_b32_e32 v0, v7, v0, vcc_lo
	v_xor_b32_e32 v1, v1, v4
	v_cndmask_b32_e64 v0, 0, v0, s0
	v_cndmask_b32_e64 v1, 0x7ff80000, v1, s0
	v_div_scale_f64 v[4:5], null, v[2:3], v[2:3], v[0:1]
	v_rcp_f64_e32 v[6:7], v[4:5]
	v_fma_f64 v[8:9], -v[4:5], v[6:7], 1.0
	v_fma_f64 v[6:7], v[6:7], v[8:9], v[6:7]
	v_fma_f64 v[8:9], -v[4:5], v[6:7], 1.0
	v_fma_f64 v[6:7], v[6:7], v[8:9], v[6:7]
	v_div_scale_f64 v[8:9], vcc_lo, v[0:1], v[2:3], v[0:1]
	v_mul_f64 v[10:11], v[8:9], v[6:7]
	v_fma_f64 v[4:5], -v[4:5], v[10:11], v[8:9]
	v_div_fmas_f64 v[4:5], v[4:5], v[6:7], v[10:11]
	v_div_fixup_f64 v[0:1], v[4:5], v[2:3], v[0:1]
                                        ; implicit-def: $vgpr2_vgpr3
.LBB6_677:
	s_andn2_saveexec_b32 s0, s21
	s_cbranch_execz .LBB6_679
; %bb.678:
	v_mul_f64 v[0:1], v[2:3], v[2:3]
	s_mov_b32 s22, 0x67f544e4
	s_mov_b32 s24, 0x13a86d09
	;; [unrolled: 1-line block ×4, first 2 shown]
	v_fma_f64 v[2:3], v[0:1], s[24:25], s[22:23]
	s_mov_b32 s22, 0xa556c734
	s_mov_b32 s23, 0x3ec71de3
	v_fma_f64 v[2:3], v[0:1], v[2:3], s[22:23]
	s_mov_b32 s22, 0x1a01a01a
	s_mov_b32 s23, 0xbf2a01a0
	;; [unrolled: 3-line block ×4, first 2 shown]
	v_fma_f64 v[2:3], v[0:1], v[2:3], s[22:23]
	v_fma_f64 v[0:1], v[0:1], v[2:3], 1.0
.LBB6_679:
	s_or_b32 exec_lo, exec_lo, s0
.LBB6_680:
	s_or_b32 exec_lo, exec_lo, s20
	v_mul_lo_u32 v2, v14, s2
	s_and_b32 s20, s1, 0xff
	s_cmp_lt_i32 s20, 11
	v_ashrrev_i32_e32 v3, 31, v2
	v_add_co_u32 v4, vcc_lo, s8, v2
	v_add_co_ci_u32_e64 v5, null, s9, v3, vcc_lo
	s_cbranch_scc1 .LBB6_688
; %bb.681:
	s_and_b32 s21, 0xffff, s20
	s_cmp_gt_i32 s21, 25
	s_cbranch_scc0 .LBB6_689
; %bb.682:
	s_cmp_gt_i32 s21, 28
	s_cbranch_scc0 .LBB6_690
; %bb.683:
	s_cmp_gt_i32 s21, 43
	s_cbranch_scc0 .LBB6_691
; %bb.684:
	s_cmp_gt_i32 s21, 45
	s_cbranch_scc0 .LBB6_692
; %bb.685:
	s_mov_b32 s23, 0
	s_mov_b32 s0, -1
	s_cmp_eq_u32 s21, 46
	s_mov_b32 s22, 0
	s_cbranch_scc0 .LBB6_693
; %bb.686:
	v_cvt_f32_f64_e32 v2, v[0:1]
	s_mov_b32 s22, -1
	s_mov_b32 s0, 0
	v_bfe_u32 v3, v2, 16, 1
	v_cmp_o_f32_e32 vcc_lo, v2, v2
	v_add3_u32 v2, v2, v3, 0x7fff
	v_mov_b32_e32 v3, 0x7fc0
	v_cndmask_b32_sdwa v2, v3, v2, vcc_lo dst_sel:DWORD dst_unused:UNUSED_PAD src0_sel:DWORD src1_sel:WORD_1
	global_store_dword v[4:5], v2, off
	s_branch .LBB6_693
.LBB6_687:
	s_mov_b32 s20, 0
	s_mov_b32 s0, s16
	s_branch .LBB6_804
.LBB6_688:
	s_mov_b32 s21, -1
	s_mov_b32 s22, 0
	s_mov_b32 s0, s16
	s_branch .LBB6_762
.LBB6_689:
	s_mov_b32 s23, -1
	s_mov_b32 s22, 0
	s_mov_b32 s0, s16
	s_branch .LBB6_720
.LBB6_690:
	s_mov_b32 s23, -1
	s_mov_b32 s22, 0
	s_mov_b32 s0, s16
	s_branch .LBB6_703
.LBB6_691:
	s_mov_b32 s23, -1
	s_mov_b32 s22, 0
	s_mov_b32 s0, s16
	s_branch .LBB6_699
.LBB6_692:
	s_mov_b32 s23, -1
	s_mov_b32 s22, 0
	s_mov_b32 s0, s16
.LBB6_693:
	s_and_b32 vcc_lo, exec_lo, s23
	s_cbranch_vccz .LBB6_698
; %bb.694:
	s_cmp_eq_u32 s21, 44
	s_mov_b32 s0, -1
	s_cbranch_scc0 .LBB6_698
; %bb.695:
	v_cvt_f32_f64_e32 v2, v[0:1]
	v_mov_b32_e32 v3, 0xff
	s_mov_b32 s22, exec_lo
	v_bfe_u32 v6, v2, 23, 8
	v_cmpx_ne_u32_e32 0xff, v6
	s_cbranch_execz .LBB6_697
; %bb.696:
	v_and_b32_e32 v3, 0x400000, v2
	v_and_or_b32 v6, 0x3fffff, v2, v6
	v_lshrrev_b32_e32 v2, 23, v2
	v_cmp_ne_u32_e32 vcc_lo, 0, v3
	v_cmp_ne_u32_e64 s0, 0, v6
	s_and_b32 s0, vcc_lo, s0
	v_cndmask_b32_e64 v3, 0, 1, s0
	v_add_nc_u32_e32 v3, v2, v3
.LBB6_697:
	s_or_b32 exec_lo, exec_lo, s22
	s_mov_b32 s22, -1
	s_mov_b32 s0, 0
	global_store_byte v[4:5], v3, off
.LBB6_698:
	s_mov_b32 s23, 0
.LBB6_699:
	s_and_b32 vcc_lo, exec_lo, s23
	s_cbranch_vccz .LBB6_702
; %bb.700:
	s_cmp_eq_u32 s21, 29
	s_mov_b32 s0, -1
	s_cbranch_scc0 .LBB6_702
; %bb.701:
	v_trunc_f64_e32 v[2:3], v[0:1]
	s_mov_b32 s22, -1
	s_mov_b32 s0, 0
	s_mov_b32 s23, 0
	v_ldexp_f64 v[6:7], v[2:3], 0xffffffe0
	v_floor_f64_e32 v[6:7], v[6:7]
	v_fma_f64 v[2:3], 0xc1f00000, v[6:7], v[2:3]
	v_cvt_u32_f64_e32 v7, v[6:7]
	v_cvt_u32_f64_e32 v6, v[2:3]
	global_store_dwordx2 v[4:5], v[6:7], off
	s_branch .LBB6_703
.LBB6_702:
	s_mov_b32 s23, 0
.LBB6_703:
	s_and_b32 vcc_lo, exec_lo, s23
	s_cbranch_vccz .LBB6_719
; %bb.704:
	s_cmp_lt_i32 s21, 27
	s_mov_b32 s22, -1
	s_cbranch_scc1 .LBB6_710
; %bb.705:
	v_cvt_u32_f64_e32 v2, v[0:1]
	s_cmp_gt_i32 s21, 27
	s_cbranch_scc0 .LBB6_707
; %bb.706:
	s_mov_b32 s22, 0
	global_store_dword v[4:5], v2, off
.LBB6_707:
	s_andn2_b32 vcc_lo, exec_lo, s22
	s_cbranch_vccnz .LBB6_709
; %bb.708:
	global_store_short v[4:5], v2, off
.LBB6_709:
	s_mov_b32 s22, 0
.LBB6_710:
	s_andn2_b32 vcc_lo, exec_lo, s22
	s_cbranch_vccnz .LBB6_718
; %bb.711:
	v_cvt_f32_f64_e32 v2, v[0:1]
	v_mov_b32_e32 v6, 0x80
	s_mov_b32 s22, exec_lo
	v_and_b32_e32 v3, 0x7fffffff, v2
	v_cmpx_gt_u32_e32 0x43800000, v3
	s_cbranch_execz .LBB6_717
; %bb.712:
	v_cmp_lt_u32_e32 vcc_lo, 0x3bffffff, v3
	s_mov_b32 s23, 0
                                        ; implicit-def: $vgpr3
	s_and_saveexec_b32 s24, vcc_lo
	s_xor_b32 s24, exec_lo, s24
	s_cbranch_execz .LBB6_819
; %bb.713:
	v_bfe_u32 v3, v2, 20, 1
	s_mov_b32 s23, exec_lo
	v_add3_u32 v3, v2, v3, 0x487ffff
	v_lshrrev_b32_e32 v3, 20, v3
	s_andn2_saveexec_b32 s24, s24
	s_cbranch_execnz .LBB6_820
.LBB6_714:
	s_or_b32 exec_lo, exec_lo, s24
	v_mov_b32_e32 v6, 0
	s_and_saveexec_b32 s24, s23
.LBB6_715:
	v_lshrrev_b32_e32 v2, 24, v2
	v_and_or_b32 v6, 0x80, v2, v3
.LBB6_716:
	s_or_b32 exec_lo, exec_lo, s24
.LBB6_717:
	s_or_b32 exec_lo, exec_lo, s22
	global_store_byte v[4:5], v6, off
.LBB6_718:
	s_mov_b32 s22, -1
.LBB6_719:
	s_mov_b32 s23, 0
.LBB6_720:
	s_and_b32 vcc_lo, exec_lo, s23
	s_cbranch_vccz .LBB6_761
; %bb.721:
	s_cmp_gt_i32 s21, 22
	s_mov_b32 s23, -1
	s_cbranch_scc0 .LBB6_753
; %bb.722:
	s_cmp_lt_i32 s21, 24
	s_mov_b32 s22, -1
	s_cbranch_scc1 .LBB6_742
; %bb.723:
	s_cmp_gt_i32 s21, 24
	s_cbranch_scc0 .LBB6_731
; %bb.724:
	v_cvt_f32_f64_e32 v2, v[0:1]
	v_mov_b32_e32 v6, 0x80
	s_mov_b32 s22, exec_lo
	v_and_b32_e32 v3, 0x7fffffff, v2
	v_cmpx_gt_u32_e32 0x47800000, v3
	s_cbranch_execz .LBB6_730
; %bb.725:
	v_cmp_lt_u32_e32 vcc_lo, 0x37ffffff, v3
	s_mov_b32 s23, 0
                                        ; implicit-def: $vgpr3
	s_and_saveexec_b32 s24, vcc_lo
	s_xor_b32 s24, exec_lo, s24
	s_cbranch_execz .LBB6_822
; %bb.726:
	v_bfe_u32 v3, v2, 21, 1
	s_mov_b32 s23, exec_lo
	v_add3_u32 v3, v2, v3, 0x88fffff
	v_lshrrev_b32_e32 v3, 21, v3
	s_andn2_saveexec_b32 s24, s24
	s_cbranch_execnz .LBB6_823
.LBB6_727:
	s_or_b32 exec_lo, exec_lo, s24
	v_mov_b32_e32 v6, 0
	s_and_saveexec_b32 s24, s23
.LBB6_728:
	v_lshrrev_b32_e32 v2, 24, v2
	v_and_or_b32 v6, 0x80, v2, v3
.LBB6_729:
	s_or_b32 exec_lo, exec_lo, s24
.LBB6_730:
	s_or_b32 exec_lo, exec_lo, s22
	s_mov_b32 s22, 0
	global_store_byte v[4:5], v6, off
.LBB6_731:
	s_and_b32 vcc_lo, exec_lo, s22
	s_cbranch_vccz .LBB6_741
; %bb.732:
	v_cvt_f32_f64_e32 v2, v[0:1]
	s_mov_b32 s22, exec_lo
                                        ; implicit-def: $vgpr3
	v_and_b32_e32 v6, 0x7fffffff, v2
	v_cmpx_gt_u32_e32 0x43f00000, v6
	s_xor_b32 s22, exec_lo, s22
	s_cbranch_execz .LBB6_738
; %bb.733:
	s_mov_b32 s23, exec_lo
                                        ; implicit-def: $vgpr3
	v_cmpx_lt_u32_e32 0x3c7fffff, v6
	s_xor_b32 s23, exec_lo, s23
; %bb.734:
	v_bfe_u32 v3, v2, 20, 1
	v_add3_u32 v3, v2, v3, 0x407ffff
	v_and_b32_e32 v6, 0xff00000, v3
	v_lshrrev_b32_e32 v3, 20, v3
	v_cmp_ne_u32_e32 vcc_lo, 0x7f00000, v6
	v_cndmask_b32_e32 v3, 0x7e, v3, vcc_lo
; %bb.735:
	s_andn2_saveexec_b32 s23, s23
; %bb.736:
	v_add_f32_e64 v3, 0x46800000, |v2|
; %bb.737:
	s_or_b32 exec_lo, exec_lo, s23
                                        ; implicit-def: $vgpr6
.LBB6_738:
	s_andn2_saveexec_b32 s22, s22
; %bb.739:
	v_mov_b32_e32 v3, 0x7f
	v_cmp_lt_u32_e32 vcc_lo, 0x7f800000, v6
	v_cndmask_b32_e32 v3, 0x7e, v3, vcc_lo
; %bb.740:
	s_or_b32 exec_lo, exec_lo, s22
	v_lshrrev_b32_e32 v2, 24, v2
	v_and_or_b32 v2, 0x80, v2, v3
	global_store_byte v[4:5], v2, off
.LBB6_741:
	s_mov_b32 s22, 0
.LBB6_742:
	s_andn2_b32 vcc_lo, exec_lo, s22
	s_cbranch_vccnz .LBB6_752
; %bb.743:
	v_cvt_f32_f64_e32 v2, v[0:1]
	s_mov_b32 s22, exec_lo
                                        ; implicit-def: $vgpr3
	v_and_b32_e32 v6, 0x7fffffff, v2
	v_cmpx_gt_u32_e32 0x47800000, v6
	s_xor_b32 s22, exec_lo, s22
	s_cbranch_execz .LBB6_749
; %bb.744:
	s_mov_b32 s23, exec_lo
                                        ; implicit-def: $vgpr3
	v_cmpx_lt_u32_e32 0x387fffff, v6
	s_xor_b32 s23, exec_lo, s23
; %bb.745:
	v_bfe_u32 v3, v2, 21, 1
	v_add3_u32 v3, v2, v3, 0x80fffff
	v_lshrrev_b32_e32 v3, 21, v3
; %bb.746:
	s_andn2_saveexec_b32 s23, s23
; %bb.747:
	v_add_f32_e64 v3, 0x43000000, |v2|
; %bb.748:
	s_or_b32 exec_lo, exec_lo, s23
                                        ; implicit-def: $vgpr6
.LBB6_749:
	s_andn2_saveexec_b32 s22, s22
; %bb.750:
	v_mov_b32_e32 v3, 0x7f
	v_cmp_lt_u32_e32 vcc_lo, 0x7f800000, v6
	v_cndmask_b32_e32 v3, 0x7c, v3, vcc_lo
; %bb.751:
	s_or_b32 exec_lo, exec_lo, s22
	v_lshrrev_b32_e32 v2, 24, v2
	v_and_or_b32 v2, 0x80, v2, v3
	global_store_byte v[4:5], v2, off
.LBB6_752:
	s_mov_b32 s23, 0
	s_mov_b32 s22, -1
.LBB6_753:
	s_andn2_b32 vcc_lo, exec_lo, s23
	s_cbranch_vccnz .LBB6_761
; %bb.754:
	s_cmp_gt_i32 s21, 14
	s_mov_b32 s23, -1
	s_cbranch_scc0 .LBB6_758
; %bb.755:
	s_cmp_eq_u32 s21, 15
	s_mov_b32 s0, -1
	s_cbranch_scc0 .LBB6_757
; %bb.756:
	v_cvt_f32_f64_e32 v2, v[0:1]
	s_mov_b32 s22, -1
	s_mov_b32 s0, 0
	v_bfe_u32 v3, v2, 16, 1
	v_cmp_o_f32_e32 vcc_lo, v2, v2
	v_add3_u32 v2, v2, v3, 0x7fff
	v_mov_b32_e32 v3, 0x7fc0
	v_cndmask_b32_sdwa v2, v3, v2, vcc_lo dst_sel:DWORD dst_unused:UNUSED_PAD src0_sel:DWORD src1_sel:WORD_1
	global_store_short v[4:5], v2, off
.LBB6_757:
	s_mov_b32 s23, 0
.LBB6_758:
	s_and_b32 vcc_lo, exec_lo, s23
	s_cbranch_vccz .LBB6_761
; %bb.759:
	s_cmp_eq_u32 s21, 11
	s_mov_b32 s0, -1
	s_cbranch_scc0 .LBB6_761
; %bb.760:
	v_cmp_neq_f64_e32 vcc_lo, 0, v[0:1]
	s_mov_b32 s22, -1
	s_mov_b32 s0, 0
	v_cndmask_b32_e64 v2, 0, 1, vcc_lo
	global_store_byte v[4:5], v2, off
.LBB6_761:
	s_mov_b32 s21, 0
.LBB6_762:
	s_and_b32 vcc_lo, exec_lo, s21
	s_cbranch_vccz .LBB6_801
; %bb.763:
	s_and_b32 s20, 0xffff, s20
	s_mov_b32 s21, -1
	s_cmp_lt_i32 s20, 5
	s_cbranch_scc1 .LBB6_784
; %bb.764:
	s_cmp_lt_i32 s20, 8
	s_cbranch_scc1 .LBB6_774
; %bb.765:
	;; [unrolled: 3-line block ×3, first 2 shown]
	s_cmp_gt_i32 s20, 9
	s_cbranch_scc0 .LBB6_768
; %bb.767:
	v_mov_b32_e32 v2, 0
	s_mov_b32 s21, 0
	v_mov_b32_e32 v3, v2
	global_store_dwordx4 v[4:5], v[0:3], off
.LBB6_768:
	s_andn2_b32 vcc_lo, exec_lo, s21
	s_cbranch_vccnz .LBB6_770
; %bb.769:
	v_cvt_f32_f64_e32 v2, v[0:1]
	v_mov_b32_e32 v3, 0
	global_store_dwordx2 v[4:5], v[2:3], off
.LBB6_770:
	s_mov_b32 s21, 0
.LBB6_771:
	s_andn2_b32 vcc_lo, exec_lo, s21
	s_cbranch_vccnz .LBB6_773
; %bb.772:
	v_and_or_b32 v2, 0x1ff, v1, v0
	v_lshrrev_b32_e32 v3, 8, v1
	v_bfe_u32 v6, v1, 20, 11
	v_cmp_ne_u32_e32 vcc_lo, 0, v2
	v_sub_nc_u32_e32 v7, 0x3f1, v6
	v_add_nc_u32_e32 v6, 0xfffffc10, v6
	v_cndmask_b32_e64 v2, 0, 1, vcc_lo
	v_and_or_b32 v2, 0xffe, v3, v2
	v_med3_i32 v3, v7, 0, 13
	v_or_b32_e32 v7, 0x1000, v2
	v_lshrrev_b32_e32 v8, v3, v7
	v_lshlrev_b32_e32 v3, v3, v8
	v_cmp_ne_u32_e32 vcc_lo, v3, v7
	v_lshl_or_b32 v7, v6, 12, v2
	v_cndmask_b32_e64 v3, 0, 1, vcc_lo
	v_cmp_gt_i32_e32 vcc_lo, 1, v6
	v_or_b32_e32 v3, v8, v3
	v_cndmask_b32_e32 v3, v7, v3, vcc_lo
	v_and_b32_e32 v7, 7, v3
	v_lshrrev_b32_e32 v3, 2, v3
	v_cmp_lt_i32_e32 vcc_lo, 5, v7
	v_cndmask_b32_e64 v8, 0, 1, vcc_lo
	v_cmp_eq_u32_e32 vcc_lo, 3, v7
	v_cndmask_b32_e64 v7, 0, 1, vcc_lo
	v_cmp_ne_u32_e32 vcc_lo, 0, v2
	v_or_b32_e32 v7, v7, v8
	v_mov_b32_e32 v8, 0x7e00
	v_add_nc_u32_e32 v3, v3, v7
	v_cndmask_b32_e32 v2, 0x7c00, v8, vcc_lo
	v_cmp_gt_i32_e32 vcc_lo, 31, v6
	v_cndmask_b32_e32 v3, 0x7c00, v3, vcc_lo
	v_cmp_eq_u32_e32 vcc_lo, 0x40f, v6
	v_cndmask_b32_e32 v2, v3, v2, vcc_lo
	v_lshrrev_b32_e32 v3, 16, v1
	v_and_or_b32 v2, 0x8000, v3, v2
	v_and_b32_e32 v2, 0xffff, v2
	global_store_dword v[4:5], v2, off
.LBB6_773:
	s_mov_b32 s21, 0
.LBB6_774:
	s_andn2_b32 vcc_lo, exec_lo, s21
	s_cbranch_vccnz .LBB6_783
; %bb.775:
	s_cmp_lt_i32 s20, 6
	s_mov_b32 s21, -1
	s_cbranch_scc1 .LBB6_781
; %bb.776:
	s_cmp_gt_i32 s20, 6
	s_cbranch_scc0 .LBB6_778
; %bb.777:
	s_mov_b32 s21, 0
	global_store_dwordx2 v[4:5], v[0:1], off
.LBB6_778:
	s_andn2_b32 vcc_lo, exec_lo, s21
	s_cbranch_vccnz .LBB6_780
; %bb.779:
	v_cvt_f32_f64_e32 v2, v[0:1]
	global_store_dword v[4:5], v2, off
.LBB6_780:
	s_mov_b32 s21, 0
.LBB6_781:
	s_andn2_b32 vcc_lo, exec_lo, s21
	s_cbranch_vccnz .LBB6_783
; %bb.782:
	v_and_or_b32 v2, 0x1ff, v1, v0
	v_lshrrev_b32_e32 v3, 8, v1
	v_bfe_u32 v6, v1, 20, 11
	v_cmp_ne_u32_e32 vcc_lo, 0, v2
	v_sub_nc_u32_e32 v7, 0x3f1, v6
	v_add_nc_u32_e32 v6, 0xfffffc10, v6
	v_cndmask_b32_e64 v2, 0, 1, vcc_lo
	v_and_or_b32 v2, 0xffe, v3, v2
	v_med3_i32 v3, v7, 0, 13
	v_or_b32_e32 v7, 0x1000, v2
	v_lshrrev_b32_e32 v8, v3, v7
	v_lshlrev_b32_e32 v3, v3, v8
	v_cmp_ne_u32_e32 vcc_lo, v3, v7
	v_lshl_or_b32 v7, v6, 12, v2
	v_cndmask_b32_e64 v3, 0, 1, vcc_lo
	v_cmp_gt_i32_e32 vcc_lo, 1, v6
	v_or_b32_e32 v3, v8, v3
	v_cndmask_b32_e32 v3, v7, v3, vcc_lo
	v_and_b32_e32 v7, 7, v3
	v_lshrrev_b32_e32 v3, 2, v3
	v_cmp_lt_i32_e32 vcc_lo, 5, v7
	v_cndmask_b32_e64 v8, 0, 1, vcc_lo
	v_cmp_eq_u32_e32 vcc_lo, 3, v7
	v_cndmask_b32_e64 v7, 0, 1, vcc_lo
	v_cmp_ne_u32_e32 vcc_lo, 0, v2
	v_or_b32_e32 v7, v7, v8
	v_mov_b32_e32 v8, 0x7e00
	v_add_nc_u32_e32 v3, v3, v7
	v_cndmask_b32_e32 v2, 0x7c00, v8, vcc_lo
	v_cmp_gt_i32_e32 vcc_lo, 31, v6
	v_cndmask_b32_e32 v3, 0x7c00, v3, vcc_lo
	v_cmp_eq_u32_e32 vcc_lo, 0x40f, v6
	v_cndmask_b32_e32 v2, v3, v2, vcc_lo
	v_lshrrev_b32_e32 v3, 16, v1
	v_and_or_b32 v2, 0x8000, v3, v2
	global_store_short v[4:5], v2, off
.LBB6_783:
	s_mov_b32 s21, 0
.LBB6_784:
	s_andn2_b32 vcc_lo, exec_lo, s21
	s_cbranch_vccnz .LBB6_800
; %bb.785:
	s_cmp_lt_i32 s20, 2
	s_mov_b32 s21, -1
	s_cbranch_scc1 .LBB6_795
; %bb.786:
	s_cmp_lt_i32 s20, 3
	s_cbranch_scc1 .LBB6_792
; %bb.787:
	s_cmp_gt_i32 s20, 3
	s_cbranch_scc0 .LBB6_789
; %bb.788:
	v_trunc_f64_e32 v[2:3], v[0:1]
	s_mov_b32 s21, 0
	v_ldexp_f64 v[6:7], v[2:3], 0xffffffe0
	v_floor_f64_e32 v[6:7], v[6:7]
	v_fma_f64 v[2:3], 0xc1f00000, v[6:7], v[2:3]
	v_cvt_i32_f64_e32 v7, v[6:7]
	v_cvt_u32_f64_e32 v6, v[2:3]
	global_store_dwordx2 v[4:5], v[6:7], off
.LBB6_789:
	s_andn2_b32 vcc_lo, exec_lo, s21
	s_cbranch_vccnz .LBB6_791
; %bb.790:
	v_cvt_i32_f64_e32 v2, v[0:1]
	global_store_dword v[4:5], v2, off
.LBB6_791:
	s_mov_b32 s21, 0
.LBB6_792:
	s_andn2_b32 vcc_lo, exec_lo, s21
	s_cbranch_vccnz .LBB6_794
; %bb.793:
	v_cvt_i32_f64_e32 v2, v[0:1]
	global_store_short v[4:5], v2, off
.LBB6_794:
	s_mov_b32 s21, 0
.LBB6_795:
	s_andn2_b32 vcc_lo, exec_lo, s21
	s_cbranch_vccnz .LBB6_800
; %bb.796:
	s_cmp_gt_i32 s20, 0
	s_mov_b32 s20, -1
	s_cbranch_scc0 .LBB6_798
; %bb.797:
	v_cvt_i32_f64_e32 v2, v[0:1]
	s_mov_b32 s20, 0
	global_store_byte v[4:5], v2, off
.LBB6_798:
	s_andn2_b32 vcc_lo, exec_lo, s20
	s_cbranch_vccnz .LBB6_800
; %bb.799:
	v_trunc_f64_e32 v[0:1], v[0:1]
	v_ldexp_f64 v[2:3], v[0:1], 0xffffffe0
	v_floor_f64_e32 v[2:3], v[2:3]
	v_fma_f64 v[0:1], 0xc1f00000, v[2:3], v[0:1]
	v_cvt_u32_f64_e32 v0, v[0:1]
	global_store_byte v[4:5], v0, off
.LBB6_800:
	s_mov_b32 s22, -1
.LBB6_801:
	s_andn2_b32 vcc_lo, exec_lo, s22
	s_cbranch_vccnz .LBB6_803
; %bb.802:
	v_add_nc_u32_e32 v14, 0x80, v14
	s_mov_b32 s20, -1
	s_branch .LBB6_805
.LBB6_803:
	s_mov_b32 s20, 0
.LBB6_804:
                                        ; implicit-def: $vgpr14
.LBB6_805:
	s_andn2_b32 s21, s16, exec_lo
	s_and_b32 s0, s0, exec_lo
	s_andn2_b32 s22, s15, exec_lo
	s_and_b32 s23, s19, exec_lo
	s_or_b32 s19, s21, s0
	s_or_b32 s0, s22, s23
	s_orn2_b32 s20, s20, exec_lo
.LBB6_806:
	s_or_b32 exec_lo, exec_lo, s18
	s_mov_b32 s21, 0
	s_mov_b32 s22, 0
	;; [unrolled: 1-line block ×3, first 2 shown]
                                        ; implicit-def: $vgpr0_vgpr1
                                        ; implicit-def: $vgpr2_vgpr3
	s_and_saveexec_b32 s18, s20
	s_cbranch_execz .LBB6_891
; %bb.807:
	v_cmp_gt_i32_e32 vcc_lo, s12, v14
	s_mov_b32 s20, 0
	s_mov_b32 s21, s0
	;; [unrolled: 1-line block ×3, first 2 shown]
                                        ; implicit-def: $vgpr0_vgpr1
                                        ; implicit-def: $vgpr2_vgpr3
	s_and_saveexec_b32 s12, vcc_lo
	s_cbranch_execz .LBB6_890
; %bb.808:
	v_mul_lo_u32 v0, v14, s3
	s_and_b32 s20, 0xffff, s5
	s_cmp_lt_i32 s20, 11
	v_ashrrev_i32_e32 v1, 31, v0
	v_add_co_u32 v0, vcc_lo, s10, v0
	v_add_co_ci_u32_e64 v1, null, s11, v1, vcc_lo
	s_cbranch_scc1 .LBB6_815
; %bb.809:
	s_cmp_gt_i32 s20, 25
	s_cbranch_scc0 .LBB6_816
; %bb.810:
	s_cmp_gt_i32 s20, 28
	s_cbranch_scc0 .LBB6_817
	;; [unrolled: 3-line block ×4, first 2 shown]
; %bb.813:
	s_cmp_eq_u32 s20, 46
	s_cbranch_scc0 .LBB6_824
; %bb.814:
	global_load_dword v2, v[0:1], off
	s_mov_b32 s21, 0
	s_mov_b32 s23, -1
	s_waitcnt vmcnt(0)
	v_lshlrev_b32_e32 v2, 16, v2
	v_cvt_f64_f32_e32 v[2:3], v2
	s_branch .LBB6_826
.LBB6_815:
	s_mov_b32 s20, -1
	s_mov_b32 s21, s0
                                        ; implicit-def: $vgpr2_vgpr3
	s_branch .LBB6_889
.LBB6_816:
	s_mov_b32 s24, -1
	s_mov_b32 s21, s0
                                        ; implicit-def: $vgpr2_vgpr3
	s_branch .LBB6_857
.LBB6_817:
	s_mov_b32 s24, -1
	s_mov_b32 s21, s0
                                        ; implicit-def: $vgpr2_vgpr3
	s_branch .LBB6_836
.LBB6_818:
	s_mov_b32 s24, -1
	s_mov_b32 s21, s0
                                        ; implicit-def: $vgpr2_vgpr3
	s_branch .LBB6_831
.LBB6_819:
	s_andn2_saveexec_b32 s24, s24
	s_cbranch_execz .LBB6_714
.LBB6_820:
	v_add_f32_e64 v3, 0x46000000, |v2|
	s_andn2_b32 s23, s23, exec_lo
	v_and_b32_e32 v3, 0xff, v3
	v_cmp_ne_u32_e32 vcc_lo, 0, v3
	s_and_b32 s25, vcc_lo, exec_lo
	s_or_b32 s23, s23, s25
	s_or_b32 exec_lo, exec_lo, s24
	v_mov_b32_e32 v6, 0
	s_and_saveexec_b32 s24, s23
	s_cbranch_execnz .LBB6_715
	s_branch .LBB6_716
.LBB6_821:
	s_mov_b32 s24, -1
	s_mov_b32 s21, s0
	s_branch .LBB6_825
.LBB6_822:
	s_andn2_saveexec_b32 s24, s24
	s_cbranch_execz .LBB6_727
.LBB6_823:
	v_add_f32_e64 v3, 0x42800000, |v2|
	s_andn2_b32 s23, s23, exec_lo
	v_and_b32_e32 v3, 0xff, v3
	v_cmp_ne_u32_e32 vcc_lo, 0, v3
	s_and_b32 s25, vcc_lo, exec_lo
	s_or_b32 s23, s23, s25
	s_or_b32 exec_lo, exec_lo, s24
	v_mov_b32_e32 v6, 0
	s_and_saveexec_b32 s24, s23
	s_cbranch_execnz .LBB6_728
	s_branch .LBB6_729
.LBB6_824:
	s_mov_b32 s21, -1
.LBB6_825:
                                        ; implicit-def: $vgpr2_vgpr3
.LBB6_826:
	s_and_b32 vcc_lo, exec_lo, s24
	s_cbranch_vccz .LBB6_830
; %bb.827:
	s_cmp_eq_u32 s20, 44
	s_cbranch_scc0 .LBB6_829
; %bb.828:
	global_load_ubyte v4, v[0:1], off
	s_mov_b32 s21, 0
	s_mov_b32 s23, -1
	s_waitcnt vmcnt(0)
	v_lshlrev_b32_e32 v2, 23, v4
	v_cmp_ne_u32_e32 vcc_lo, 0xff, v4
	v_cvt_f64_f32_e32 v[2:3], v2
	v_cndmask_b32_e32 v2, 0x20000000, v2, vcc_lo
	v_cndmask_b32_e32 v3, 0x7ff80000, v3, vcc_lo
	v_cmp_ne_u32_e32 vcc_lo, 0, v4
	v_cndmask_b32_e32 v3, 0x38000000, v3, vcc_lo
	v_cndmask_b32_e32 v2, 0, v2, vcc_lo
	s_branch .LBB6_830
.LBB6_829:
	s_mov_b32 s21, -1
                                        ; implicit-def: $vgpr2_vgpr3
.LBB6_830:
	s_mov_b32 s24, 0
.LBB6_831:
	s_and_b32 vcc_lo, exec_lo, s24
	s_cbranch_vccz .LBB6_835
; %bb.832:
	s_cmp_eq_u32 s20, 29
	s_cbranch_scc0 .LBB6_834
; %bb.833:
	global_load_dwordx2 v[2:3], v[0:1], off
	s_mov_b32 s21, 0
	s_mov_b32 s23, -1
	s_mov_b32 s24, 0
	s_waitcnt vmcnt(0)
	v_cvt_f64_u32_e32 v[3:4], v3
	v_cvt_f64_u32_e32 v[5:6], v2
	v_ldexp_f64 v[3:4], v[3:4], 32
	v_add_f64 v[2:3], v[3:4], v[5:6]
	s_branch .LBB6_836
.LBB6_834:
	s_mov_b32 s21, -1
                                        ; implicit-def: $vgpr2_vgpr3
.LBB6_835:
	s_mov_b32 s24, 0
.LBB6_836:
	s_and_b32 vcc_lo, exec_lo, s24
	s_cbranch_vccz .LBB6_856
; %bb.837:
	s_cmp_lt_i32 s20, 27
	s_cbranch_scc1 .LBB6_840
; %bb.838:
	s_cmp_gt_i32 s20, 27
	s_cbranch_scc0 .LBB6_841
; %bb.839:
	global_load_dword v2, v[0:1], off
	s_mov_b32 s23, 0
	s_waitcnt vmcnt(0)
	v_cvt_f64_u32_e32 v[2:3], v2
	s_branch .LBB6_842
.LBB6_840:
	s_mov_b32 s23, -1
                                        ; implicit-def: $vgpr2_vgpr3
	s_branch .LBB6_845
.LBB6_841:
	s_mov_b32 s23, -1
                                        ; implicit-def: $vgpr2_vgpr3
.LBB6_842:
	s_andn2_b32 vcc_lo, exec_lo, s23
	s_cbranch_vccnz .LBB6_844
; %bb.843:
	global_load_ushort v2, v[0:1], off
	s_waitcnt vmcnt(0)
	v_cvt_f64_u32_e32 v[2:3], v2
.LBB6_844:
	s_mov_b32 s23, 0
.LBB6_845:
	s_andn2_b32 vcc_lo, exec_lo, s23
	s_cbranch_vccnz .LBB6_855
; %bb.846:
	global_load_ubyte v4, v[0:1], off
	s_mov_b32 s23, 0
	s_mov_b32 s24, exec_lo
	s_waitcnt vmcnt(0)
	v_cmpx_lt_i16_e32 0x7f, v4
	s_xor_b32 s24, exec_lo, s24
	s_cbranch_execz .LBB6_850
; %bb.847:
	s_mov_b32 s23, -1
	s_mov_b32 s25, exec_lo
	v_cmpx_eq_u16_e32 0x80, v4
; %bb.848:
	s_xor_b32 s23, exec_lo, -1
; %bb.849:
	s_or_b32 exec_lo, exec_lo, s25
	s_and_b32 s23, s23, exec_lo
.LBB6_850:
	s_or_saveexec_b32 s24, s24
	v_bfrev_b32_e32 v2, 4
	v_mov_b32_e32 v3, 0x7ff80000
	s_xor_b32 exec_lo, exec_lo, s24
; %bb.851:
	v_cmp_ne_u16_e32 vcc_lo, 0, v4
	v_mov_b32_e32 v2, 0
	v_mov_b32_e32 v3, 0
	s_andn2_b32 s23, s23, exec_lo
	s_and_b32 s25, vcc_lo, exec_lo
	s_or_b32 s23, s23, s25
; %bb.852:
	s_or_b32 exec_lo, exec_lo, s24
	s_and_saveexec_b32 s24, s23
	s_cbranch_execz .LBB6_854
; %bb.853:
	v_and_b32_e32 v2, 0xffff, v4
	v_lshlrev_b32_e32 v4, 24, v4
	v_and_b32_e32 v3, 7, v2
	v_bfe_u32 v7, v2, 3, 4
	v_ffbh_u32_e32 v5, v3
	v_cmp_eq_u32_e32 vcc_lo, 0, v7
	v_min_u32_e32 v5, 32, v5
	v_subrev_nc_u32_e32 v6, 28, v5
	v_sub_nc_u32_e32 v5, 29, v5
	v_lshlrev_b32_e32 v2, v6, v2
	v_cndmask_b32_e32 v5, v7, v5, vcc_lo
	v_and_b32_e32 v2, 7, v2
	v_cndmask_b32_e32 v2, v3, v2, vcc_lo
	v_and_b32_e32 v3, 0x80000000, v4
	v_lshl_add_u32 v4, v5, 23, 0x3b800000
	v_lshlrev_b32_e32 v2, 20, v2
	v_or3_b32 v2, v3, v4, v2
	v_cvt_f64_f32_e32 v[2:3], v2
.LBB6_854:
	s_or_b32 exec_lo, exec_lo, s24
.LBB6_855:
	s_mov_b32 s23, -1
.LBB6_856:
	s_mov_b32 s24, 0
.LBB6_857:
	s_and_b32 vcc_lo, exec_lo, s24
	s_cbranch_vccz .LBB6_888
; %bb.858:
	s_cmp_gt_i32 s20, 22
	s_cbranch_scc0 .LBB6_870
; %bb.859:
	s_cmp_lt_i32 s20, 24
	s_cbranch_scc1 .LBB6_871
; %bb.860:
	s_cmp_gt_i32 s20, 24
	s_cbranch_scc0 .LBB6_872
; %bb.861:
	global_load_ubyte v4, v[0:1], off
	s_mov_b32 s23, exec_lo
	s_waitcnt vmcnt(0)
	v_cmpx_lt_i16_e32 0x7f, v4
	s_xor_b32 s23, exec_lo, s23
	s_cbranch_execz .LBB6_865
; %bb.862:
	s_mov_b32 s22, -1
	s_mov_b32 s24, exec_lo
	v_cmpx_eq_u16_e32 0x80, v4
; %bb.863:
	s_xor_b32 s22, exec_lo, -1
; %bb.864:
	s_or_b32 exec_lo, exec_lo, s24
	s_and_b32 s22, s22, exec_lo
.LBB6_865:
	s_or_saveexec_b32 s23, s23
	v_bfrev_b32_e32 v2, 4
	v_mov_b32_e32 v3, 0x7ff80000
	s_xor_b32 exec_lo, exec_lo, s23
; %bb.866:
	v_cmp_ne_u16_e32 vcc_lo, 0, v4
	v_mov_b32_e32 v2, 0
	v_mov_b32_e32 v3, 0
	s_andn2_b32 s22, s22, exec_lo
	s_and_b32 s24, vcc_lo, exec_lo
	s_or_b32 s22, s22, s24
; %bb.867:
	s_or_b32 exec_lo, exec_lo, s23
	s_and_saveexec_b32 s23, s22
	s_cbranch_execz .LBB6_869
; %bb.868:
	v_and_b32_e32 v2, 0xffff, v4
	v_lshlrev_b32_e32 v4, 24, v4
	v_and_b32_e32 v3, 3, v2
	v_bfe_u32 v7, v2, 2, 5
	v_ffbh_u32_e32 v5, v3
	v_cmp_eq_u32_e32 vcc_lo, 0, v7
	v_min_u32_e32 v5, 32, v5
	v_subrev_nc_u32_e32 v6, 29, v5
	v_sub_nc_u32_e32 v5, 30, v5
	v_lshlrev_b32_e32 v2, v6, v2
	v_cndmask_b32_e32 v5, v7, v5, vcc_lo
	v_and_b32_e32 v2, 3, v2
	v_cndmask_b32_e32 v2, v3, v2, vcc_lo
	v_and_b32_e32 v3, 0x80000000, v4
	v_lshl_add_u32 v4, v5, 23, 0x37800000
	v_lshlrev_b32_e32 v2, 21, v2
	v_or3_b32 v2, v3, v4, v2
	v_cvt_f64_f32_e32 v[2:3], v2
.LBB6_869:
	s_or_b32 exec_lo, exec_lo, s23
	s_mov_b32 s22, 0
	s_branch .LBB6_873
.LBB6_870:
	s_mov_b32 s22, -1
                                        ; implicit-def: $vgpr2_vgpr3
	s_branch .LBB6_879
.LBB6_871:
	s_mov_b32 s22, -1
                                        ; implicit-def: $vgpr2_vgpr3
	s_branch .LBB6_876
.LBB6_872:
	s_mov_b32 s22, -1
                                        ; implicit-def: $vgpr2_vgpr3
.LBB6_873:
	s_and_b32 vcc_lo, exec_lo, s22
	s_cbranch_vccz .LBB6_875
; %bb.874:
	global_load_ubyte v2, v[0:1], off
	s_waitcnt vmcnt(0)
	v_lshlrev_b32_e32 v2, 24, v2
	v_and_b32_e32 v3, 0x7f000000, v2
	v_ffbh_u32_e32 v4, v3
	v_add_nc_u32_e32 v6, 0x1000000, v3
	v_cmp_ne_u32_e32 vcc_lo, 0, v3
	v_min_u32_e32 v4, 32, v4
	v_sub_nc_u32_e64 v4, v4, 4 clamp
	v_lshlrev_b32_e32 v5, v4, v3
	v_lshlrev_b32_e32 v4, 23, v4
	v_lshrrev_b32_e32 v5, 4, v5
	v_sub_nc_u32_e32 v4, v5, v4
	v_ashrrev_i32_e32 v5, 8, v6
	v_add_nc_u32_e32 v4, 0x3c000000, v4
	v_and_or_b32 v4, 0x7f800000, v5, v4
	v_cndmask_b32_e32 v3, 0, v4, vcc_lo
	v_and_or_b32 v2, 0x80000000, v2, v3
	v_cvt_f64_f32_e32 v[2:3], v2
.LBB6_875:
	s_mov_b32 s22, 0
.LBB6_876:
	s_andn2_b32 vcc_lo, exec_lo, s22
	s_cbranch_vccnz .LBB6_878
; %bb.877:
	global_load_ubyte v2, v[0:1], off
	s_waitcnt vmcnt(0)
	v_lshlrev_b32_e32 v3, 25, v2
	v_lshlrev_b16 v2, 8, v2
	v_lshrrev_b32_e32 v4, 4, v3
	v_and_or_b32 v5, 0x7f00, v2, 0.5
	v_cmp_gt_u32_e32 vcc_lo, 0x8000000, v3
	v_bfe_i32 v2, v2, 0, 16
	v_or_b32_e32 v4, 0x70000000, v4
	v_add_f32_e32 v5, -0.5, v5
	v_mul_f32_e32 v4, 0x7800000, v4
	v_cndmask_b32_e32 v3, v4, v5, vcc_lo
	v_and_or_b32 v2, 0x80000000, v2, v3
	v_cvt_f64_f32_e32 v[2:3], v2
.LBB6_878:
	s_mov_b32 s22, 0
	s_mov_b32 s23, -1
.LBB6_879:
	s_andn2_b32 vcc_lo, exec_lo, s22
	s_mov_b32 s22, 0
	s_cbranch_vccnz .LBB6_888
; %bb.880:
	s_cmp_gt_i32 s20, 14
	s_cbranch_scc0 .LBB6_883
; %bb.881:
	s_cmp_eq_u32 s20, 15
	s_cbranch_scc0 .LBB6_884
; %bb.882:
	global_load_ushort v2, v[0:1], off
	s_mov_b32 s21, 0
	s_mov_b32 s23, -1
	s_waitcnt vmcnt(0)
	v_lshlrev_b32_e32 v2, 16, v2
	v_cvt_f64_f32_e32 v[2:3], v2
	s_branch .LBB6_886
.LBB6_883:
	s_mov_b32 s22, -1
	s_branch .LBB6_885
.LBB6_884:
	s_mov_b32 s21, -1
.LBB6_885:
                                        ; implicit-def: $vgpr2_vgpr3
.LBB6_886:
	s_and_b32 vcc_lo, exec_lo, s22
	s_mov_b32 s22, 0
	s_cbranch_vccz .LBB6_888
; %bb.887:
	s_cmp_lg_u32 s20, 11
	s_mov_b32 s22, -1
	s_cselect_b32 s20, -1, 0
	s_andn2_b32 s21, s21, exec_lo
	s_and_b32 s20, s20, exec_lo
	s_or_b32 s21, s21, s20
.LBB6_888:
	s_mov_b32 s20, 0
.LBB6_889:
	s_andn2_b32 s25, s0, exec_lo
	s_and_b32 s21, s21, exec_lo
	s_and_b32 s23, s23, exec_lo
	;; [unrolled: 1-line block ×4, first 2 shown]
	s_or_b32 s21, s25, s21
.LBB6_890:
	s_or_b32 exec_lo, exec_lo, s12
	s_andn2_b32 s0, s0, exec_lo
	s_and_b32 s12, s21, exec_lo
	s_and_b32 s23, s23, exec_lo
	;; [unrolled: 1-line block ×4, first 2 shown]
	s_or_b32 s0, s0, s12
.LBB6_891:
	s_or_b32 exec_lo, exec_lo, s18
	s_andn2_b32 s12, s16, exec_lo
	s_and_b32 s16, s19, exec_lo
	s_and_b32 s0, s0, exec_lo
	s_or_b32 s16, s12, s16
	s_andn2_b32 s12, s15, exec_lo
	s_and_b32 s20, s23, exec_lo
	s_and_b32 s19, s22, exec_lo
	s_and_b32 s18, s21, exec_lo
	s_or_b32 s15, s12, s0
.LBB6_892:
	s_or_b32 exec_lo, exec_lo, s17
	s_andn2_b32 s0, s7, exec_lo
	s_and_b32 s7, s16, exec_lo
	s_andn2_b32 s12, s13, exec_lo
	s_and_b32 s13, s15, exec_lo
	s_or_b32 s7, s0, s7
	s_and_b32 s0, s20, exec_lo
	s_and_b32 s16, s19, exec_lo
	;; [unrolled: 1-line block ×3, first 2 shown]
	s_or_b32 s13, s12, s13
	s_or_b32 exec_lo, exec_lo, s14
	s_mov_b32 s12, 0
	s_and_saveexec_b32 s14, s13
	s_cbranch_execz .LBB6_272
.LBB6_893:
	s_mov_b32 s12, exec_lo
	s_andn2_b32 s15, s15, exec_lo
	s_trap 2
	s_or_b32 exec_lo, exec_lo, s14
	s_and_saveexec_b32 s13, s15
	s_xor_b32 s13, exec_lo, s13
	s_cbranch_execnz .LBB6_273
.LBB6_894:
	s_or_b32 exec_lo, exec_lo, s13
	s_and_saveexec_b32 s13, s16
	s_cbranch_execz .LBB6_940
.LBB6_895:
	s_sext_i32_i16 s14, s5
	s_cmp_lt_i32 s14, 5
	s_cbranch_scc1 .LBB6_900
; %bb.896:
	s_cmp_lt_i32 s14, 8
	s_cbranch_scc1 .LBB6_901
; %bb.897:
	;; [unrolled: 3-line block ×3, first 2 shown]
	s_cmp_gt_i32 s14, 9
	s_cbranch_scc0 .LBB6_903
; %bb.899:
	global_load_dwordx2 v[2:3], v[0:1], off
	s_mov_b32 s14, 0
	s_branch .LBB6_904
.LBB6_900:
                                        ; implicit-def: $vgpr2_vgpr3
	s_branch .LBB6_921
.LBB6_901:
                                        ; implicit-def: $vgpr2_vgpr3
	s_branch .LBB6_910
.LBB6_902:
	s_mov_b32 s14, -1
                                        ; implicit-def: $vgpr2_vgpr3
	s_branch .LBB6_907
.LBB6_903:
	s_mov_b32 s14, -1
                                        ; implicit-def: $vgpr2_vgpr3
.LBB6_904:
	s_andn2_b32 vcc_lo, exec_lo, s14
	s_cbranch_vccnz .LBB6_906
; %bb.905:
	global_load_dword v2, v[0:1], off
	s_waitcnt vmcnt(0)
	v_cvt_f64_f32_e32 v[2:3], v2
.LBB6_906:
	s_mov_b32 s14, 0
.LBB6_907:
	s_andn2_b32 vcc_lo, exec_lo, s14
	s_cbranch_vccnz .LBB6_909
; %bb.908:
	global_load_dword v2, v[0:1], off
	s_waitcnt vmcnt(0)
	v_cvt_f32_f16_e32 v2, v2
	v_cvt_f64_f32_e32 v[2:3], v2
.LBB6_909:
	s_cbranch_execnz .LBB6_920
.LBB6_910:
	s_sext_i32_i16 s14, s5
	s_cmp_lt_i32 s14, 6
	s_cbranch_scc1 .LBB6_913
; %bb.911:
	s_cmp_gt_i32 s14, 6
	s_cbranch_scc0 .LBB6_914
; %bb.912:
	global_load_dwordx2 v[2:3], v[0:1], off
	s_mov_b32 s14, 0
	s_branch .LBB6_915
.LBB6_913:
	s_mov_b32 s14, -1
                                        ; implicit-def: $vgpr2_vgpr3
	s_branch .LBB6_918
.LBB6_914:
	s_mov_b32 s14, -1
                                        ; implicit-def: $vgpr2_vgpr3
.LBB6_915:
	s_andn2_b32 vcc_lo, exec_lo, s14
	s_cbranch_vccnz .LBB6_917
; %bb.916:
	global_load_dword v2, v[0:1], off
	s_waitcnt vmcnt(0)
	v_cvt_f64_f32_e32 v[2:3], v2
.LBB6_917:
	s_mov_b32 s14, 0
.LBB6_918:
	s_andn2_b32 vcc_lo, exec_lo, s14
	s_cbranch_vccnz .LBB6_920
; %bb.919:
	global_load_ushort v2, v[0:1], off
	s_waitcnt vmcnt(0)
	v_cvt_f32_f16_e32 v2, v2
	v_cvt_f64_f32_e32 v[2:3], v2
.LBB6_920:
	s_cbranch_execnz .LBB6_939
.LBB6_921:
	s_sext_i32_i16 s14, s5
	s_cmp_lt_i32 s14, 2
	s_cbranch_scc1 .LBB6_925
; %bb.922:
	s_cmp_lt_i32 s14, 3
	s_cbranch_scc1 .LBB6_926
; %bb.923:
	s_cmp_gt_i32 s14, 3
	s_cbranch_scc0 .LBB6_927
; %bb.924:
	global_load_dwordx2 v[2:3], v[0:1], off
	s_mov_b32 s14, 0
	s_waitcnt vmcnt(0)
	v_cvt_f64_i32_e32 v[3:4], v3
	v_cvt_f64_u32_e32 v[5:6], v2
	v_ldexp_f64 v[3:4], v[3:4], 32
	v_add_f64 v[2:3], v[3:4], v[5:6]
	s_branch .LBB6_928
.LBB6_925:
                                        ; implicit-def: $vgpr2_vgpr3
	s_branch .LBB6_934
.LBB6_926:
	s_mov_b32 s14, -1
                                        ; implicit-def: $vgpr2_vgpr3
	s_branch .LBB6_931
.LBB6_927:
	s_mov_b32 s14, -1
                                        ; implicit-def: $vgpr2_vgpr3
.LBB6_928:
	s_andn2_b32 vcc_lo, exec_lo, s14
	s_cbranch_vccnz .LBB6_930
; %bb.929:
	global_load_dword v2, v[0:1], off
	s_waitcnt vmcnt(0)
	v_cvt_f64_i32_e32 v[2:3], v2
.LBB6_930:
	s_mov_b32 s14, 0
.LBB6_931:
	s_andn2_b32 vcc_lo, exec_lo, s14
	s_cbranch_vccnz .LBB6_933
; %bb.932:
	global_load_sshort v2, v[0:1], off
	s_waitcnt vmcnt(0)
	v_cvt_f64_i32_e32 v[2:3], v2
.LBB6_933:
	s_cbranch_execnz .LBB6_939
.LBB6_934:
	s_sext_i32_i16 s14, s5
	s_cmp_gt_i32 s14, 0
	s_mov_b32 s14, 0
	s_cbranch_scc0 .LBB6_936
; %bb.935:
	global_load_sbyte v2, v[0:1], off
	s_waitcnt vmcnt(0)
	v_cvt_f64_i32_e32 v[2:3], v2
	s_branch .LBB6_937
.LBB6_936:
	s_mov_b32 s14, -1
                                        ; implicit-def: $vgpr2_vgpr3
.LBB6_937:
	s_andn2_b32 vcc_lo, exec_lo, s14
	s_cbranch_vccnz .LBB6_939
; %bb.938:
	global_load_ubyte v0, v[0:1], off
	s_waitcnt vmcnt(0)
	v_cvt_f64_u32_e32 v[2:3], v0
.LBB6_939:
	s_or_b32 s0, s0, exec_lo
.LBB6_940:
	s_or_b32 exec_lo, exec_lo, s13
	s_mov_b32 s16, 0
	s_mov_b32 s15, 0
                                        ; implicit-def: $sgpr14
                                        ; implicit-def: $vgpr4_vgpr5
                                        ; implicit-def: $vgpr0_vgpr1
	s_and_saveexec_b32 s13, s0
	s_cbranch_execz .LBB6_958
; %bb.941:
	v_mov_b32_e32 v0, 0
	v_mov_b32_e32 v1, 0
	s_mov_b32 s14, exec_lo
	s_waitcnt vmcnt(0)
	v_cmpx_neq_f64_e64 0x7ff00000, |v[2:3]|
	s_cbranch_execz .LBB6_951
; %bb.942:
	s_mov_b32 s15, exec_lo
                                        ; implicit-def: $vgpr0_vgpr1
	v_cmpx_nlt_f64_e64 |v[2:3]|, 0.5
	s_xor_b32 s15, exec_lo, s15
	s_cbranch_execz .LBB6_948
; %bb.943:
	v_cmp_ngt_f64_e64 s0, 0x41d00000, |v[2:3]|
                                        ; implicit-def: $vgpr6
                                        ; implicit-def: $vgpr0_vgpr1
                                        ; implicit-def: $vgpr4_vgpr5
	s_and_saveexec_b32 s16, s0
	s_xor_b32 s0, exec_lo, s16
	s_cbranch_execz .LBB6_945
; %bb.944:
	v_ldexp_f64 v[0:1], |v[2:3]|, 0xffffff80
	v_cmp_le_f64_e64 vcc_lo, 0x7b000000, |v[2:3]|
	v_trig_preop_f64 v[4:5], |v[2:3]|, 0
	v_and_b32_e32 v6, 0x7fffffff, v3
	v_trig_preop_f64 v[17:18], |v[2:3]|, 2
	v_mov_b32_e32 v25, 0
	s_mov_b32 s16, 0x54442d18
	s_mov_b32 s17, 0x3ff921fb
	;; [unrolled: 1-line block ×4, first 2 shown]
	v_cndmask_b32_e32 v1, v6, v1, vcc_lo
	v_cndmask_b32_e32 v0, v2, v0, vcc_lo
	v_trig_preop_f64 v[6:7], |v[2:3]|, 1
	v_mul_f64 v[8:9], v[4:5], v[0:1]
	v_mul_f64 v[23:24], v[17:18], v[0:1]
	;; [unrolled: 1-line block ×3, first 2 shown]
	v_fma_f64 v[4:5], v[4:5], v[0:1], -v[8:9]
	v_fma_f64 v[6:7], v[6:7], v[0:1], -v[10:11]
	;; [unrolled: 1-line block ×3, first 2 shown]
	v_add_f64 v[12:13], v[10:11], v[4:5]
	v_add_f64 v[15:16], v[12:13], -v[10:11]
	v_add_f64 v[21:22], v[8:9], v[12:13]
	v_add_f64 v[19:20], v[12:13], -v[15:16]
	v_add_f64 v[4:5], v[4:5], -v[15:16]
	v_ldexp_f64 v[15:16], v[21:22], -2
	v_add_f64 v[8:9], v[21:22], -v[8:9]
	v_add_f64 v[10:11], v[10:11], -v[19:20]
	v_add_f64 v[19:20], v[23:24], v[6:7]
	v_cmp_neq_f64_e64 vcc_lo, 0x7ff00000, |v[15:16]|
	v_add_f64 v[8:9], v[12:13], -v[8:9]
	v_add_f64 v[4:5], v[4:5], v[10:11]
	v_fract_f64_e32 v[10:11], v[15:16]
	v_add_f64 v[12:13], v[19:20], v[4:5]
	v_ldexp_f64 v[10:11], v[10:11], 2
	v_add_f64 v[15:16], v[8:9], v[12:13]
	v_cndmask_b32_e32 v11, 0, v11, vcc_lo
	v_cndmask_b32_e32 v10, 0, v10, vcc_lo
	v_add_f64 v[21:22], v[15:16], v[10:11]
	v_add_f64 v[8:9], v[15:16], -v[8:9]
	v_cmp_gt_f64_e32 vcc_lo, 0, v[21:22]
	v_add_f64 v[21:22], v[19:20], -v[23:24]
	v_cndmask_b32_e64 v26, 0, 0x40100000, vcc_lo
	v_add_f64 v[30:31], v[19:20], -v[21:22]
	v_add_f64 v[6:7], v[6:7], -v[21:22]
	v_add_f64 v[10:11], v[10:11], v[25:26]
	v_add_f64 v[26:27], v[12:13], -v[19:20]
	v_add_f64 v[21:22], v[23:24], -v[30:31]
	v_add_f64 v[28:29], v[15:16], v[10:11]
	;; [unrolled: 3-line block ×3, first 2 shown]
	v_cvt_i32_f64_e32 v28, v[28:29]
	v_add_f64 v[19:20], v[19:20], -v[32:33]
	v_cvt_f64_i32_e32 v[26:27], v28
	v_add_f64 v[4:5], v[4:5], v[19:20]
	v_add_f64 v[10:11], v[10:11], -v[26:27]
	v_add_f64 v[4:5], v[6:7], v[4:5]
	v_add_f64 v[6:7], v[12:13], -v[8:9]
	v_add_f64 v[17:18], v[15:16], v[10:11]
	v_add_f64 v[0:1], v[0:1], v[4:5]
	v_add_f64 v[4:5], v[17:18], -v[10:11]
	v_cmp_le_f64_e32 vcc_lo, 0.5, v[17:18]
	v_add_f64 v[0:1], v[6:7], v[0:1]
	v_add_f64 v[4:5], v[15:16], -v[4:5]
	v_cndmask_b32_e64 v26, 0, 0x3ff00000, vcc_lo
	v_add_co_ci_u32_e64 v6, null, 0, v28, vcc_lo
	v_add_f64 v[0:1], v[0:1], v[4:5]
	v_add_f64 v[4:5], v[17:18], -v[25:26]
	v_add_f64 v[7:8], v[4:5], v[0:1]
	v_mul_f64 v[9:10], v[7:8], s[16:17]
	v_add_f64 v[4:5], v[7:8], -v[4:5]
	v_fma_f64 v[11:12], v[7:8], s[16:17], -v[9:10]
	v_add_f64 v[0:1], v[0:1], -v[4:5]
	v_fma_f64 v[4:5], v[7:8], s[18:19], v[11:12]
	v_fma_f64 v[4:5], v[0:1], s[16:17], v[4:5]
	v_add_f64 v[0:1], v[9:10], v[4:5]
	v_add_f64 v[7:8], v[0:1], -v[9:10]
	v_add_f64 v[4:5], v[4:5], -v[7:8]
.LBB6_945:
	s_andn2_saveexec_b32 s0, s0
	s_cbranch_execz .LBB6_947
; %bb.946:
	s_mov_b32 s16, 0x6dc9c883
	s_mov_b32 s17, 0x3fe45f30
	;; [unrolled: 1-line block ×3, first 2 shown]
	v_mul_f64 v[0:1], |v[2:3]|, s[16:17]
	s_mov_b32 s16, 0x54442d18
	s_mov_b32 s17, 0xbff921fb
	;; [unrolled: 1-line block ×3, first 2 shown]
	v_rndne_f64_e32 v[6:7], v[0:1]
	v_fma_f64 v[0:1], v[6:7], s[16:17], |v[2:3]|
	v_mul_f64 v[4:5], v[6:7], s[18:19]
	s_mov_b32 s16, 0x252049c0
	s_mov_b32 s17, 0xb97b839a
	v_fma_f64 v[10:11], v[6:7], s[18:19], v[0:1]
	v_add_f64 v[8:9], v[0:1], v[4:5]
	s_mov_b32 s19, 0x3c91a626
	v_add_f64 v[0:1], v[0:1], -v[8:9]
	v_add_f64 v[8:9], v[8:9], -v[10:11]
	v_add_f64 v[0:1], v[0:1], v[4:5]
	v_fma_f64 v[4:5], v[6:7], s[18:19], v[4:5]
	v_add_f64 v[0:1], v[8:9], v[0:1]
	v_add_f64 v[0:1], v[0:1], -v[4:5]
	v_fma_f64 v[4:5], v[6:7], s[16:17], v[0:1]
	v_cvt_i32_f64_e32 v6, v[6:7]
	v_add_f64 v[0:1], v[10:11], v[4:5]
	v_add_f64 v[8:9], v[0:1], -v[10:11]
	v_add_f64 v[4:5], v[4:5], -v[8:9]
.LBB6_947:
	s_or_b32 exec_lo, exec_lo, s0
	v_mul_f64 v[7:8], v[0:1], v[0:1]
	s_mov_b32 s16, 0xb42fdfa7
	s_mov_b32 s18, 0xf9a43bb8
	;; [unrolled: 1-line block ×6, first 2 shown]
	v_mul_f64 v[19:20], v[4:5], 0.5
	v_cmp_class_f64_e64 s0, v[2:3], 0x1f8
	v_fma_f64 v[9:10], v[7:8], s[18:19], s[16:17]
	s_mov_b32 s16, 0x9037ab78
	s_mov_b32 s18, 0x46cc5e42
	;; [unrolled: 1-line block ×4, first 2 shown]
	v_mul_f64 v[15:16], v[7:8], 0.5
	v_fma_f64 v[11:12], v[7:8], s[18:19], s[16:17]
	s_mov_b32 s16, 0xa17f65f6
	s_mov_b32 s18, 0x19e83e5c
	;; [unrolled: 1-line block ×4, first 2 shown]
	v_mul_f64 v[21:22], v[0:1], -v[7:8]
	v_fma_f64 v[9:10], v[7:8], v[9:10], s[20:21]
	v_add_f64 v[17:18], -v[15:16], 1.0
	v_fma_f64 v[11:12], v[7:8], v[11:12], s[16:17]
	s_mov_b32 s16, 0x19f4ec90
	s_mov_b32 s17, 0x3efa01a0
	v_fma_f64 v[9:10], v[7:8], v[9:10], s[18:19]
	s_mov_b32 s18, 0x11110bb3
	s_mov_b32 s19, 0x3f811111
	v_add_f64 v[23:24], -v[17:18], 1.0
	v_fma_f64 v[11:12], v[7:8], v[11:12], s[16:17]
	s_mov_b32 s16, 0x16c16967
	s_mov_b32 s17, 0xbf56c16c
	v_fma_f64 v[9:10], v[7:8], v[9:10], s[18:19]
	v_add_f64 v[15:16], v[23:24], -v[15:16]
	v_fma_f64 v[11:12], v[7:8], v[11:12], s[16:17]
	s_mov_b32 s17, 0x3fa55555
	s_mov_b32 s16, 0x55555555
	v_fma_f64 v[9:10], v[21:22], v[9:10], v[19:20]
	v_mul_f64 v[19:20], v[7:8], v[7:8]
	v_fma_f64 v[15:16], v[0:1], -v[4:5], v[15:16]
	v_fma_f64 v[11:12], v[7:8], v[11:12], s[16:17]
	s_mov_b32 s17, 0xbfc55555
	v_fma_f64 v[4:5], v[7:8], v[9:10], -v[4:5]
	v_fma_f64 v[7:8], v[19:20], v[11:12], v[15:16]
	v_fma_f64 v[4:5], v[21:22], s[16:17], v[4:5]
	v_add_f64 v[7:8], v[17:18], v[7:8]
	v_add_f64 v[0:1], v[0:1], -v[4:5]
	v_and_b32_e32 v4, 1, v6
	v_cmp_eq_u32_e32 vcc_lo, 0, v4
	v_lshlrev_b32_e32 v4, 30, v6
	v_xor_b32_e32 v4, v4, v3
	v_and_b32_e32 v4, 0x80000000, v4
	v_cndmask_b32_e32 v1, v8, v1, vcc_lo
	v_cndmask_b32_e32 v0, v7, v0, vcc_lo
	v_xor_b32_e32 v1, v1, v4
	v_cndmask_b32_e64 v0, 0, v0, s0
	v_cndmask_b32_e64 v1, 0x7ff80000, v1, s0
	v_div_scale_f64 v[4:5], null, v[2:3], v[2:3], v[0:1]
	v_rcp_f64_e32 v[6:7], v[4:5]
	v_fma_f64 v[8:9], -v[4:5], v[6:7], 1.0
	v_fma_f64 v[6:7], v[6:7], v[8:9], v[6:7]
	v_fma_f64 v[8:9], -v[4:5], v[6:7], 1.0
	v_fma_f64 v[6:7], v[6:7], v[8:9], v[6:7]
	v_div_scale_f64 v[8:9], vcc_lo, v[0:1], v[2:3], v[0:1]
	v_mul_f64 v[10:11], v[8:9], v[6:7]
	v_fma_f64 v[4:5], -v[4:5], v[10:11], v[8:9]
	v_div_fmas_f64 v[4:5], v[4:5], v[6:7], v[10:11]
	v_div_fixup_f64 v[0:1], v[4:5], v[2:3], v[0:1]
                                        ; implicit-def: $vgpr2_vgpr3
.LBB6_948:
	s_andn2_saveexec_b32 s0, s15
	s_cbranch_execz .LBB6_950
; %bb.949:
	v_mul_f64 v[0:1], v[2:3], v[2:3]
	s_mov_b32 s16, 0x67f544e4
	s_mov_b32 s18, 0x13a86d09
	;; [unrolled: 1-line block ×4, first 2 shown]
	v_fma_f64 v[2:3], v[0:1], s[18:19], s[16:17]
	s_mov_b32 s16, 0xa556c734
	s_mov_b32 s17, 0x3ec71de3
	v_fma_f64 v[2:3], v[0:1], v[2:3], s[16:17]
	s_mov_b32 s16, 0x1a01a01a
	s_mov_b32 s17, 0xbf2a01a0
	;; [unrolled: 3-line block ×4, first 2 shown]
	v_fma_f64 v[2:3], v[0:1], v[2:3], s[16:17]
	v_fma_f64 v[0:1], v[0:1], v[2:3], 1.0
.LBB6_950:
	s_or_b32 exec_lo, exec_lo, s0
.LBB6_951:
	s_or_b32 exec_lo, exec_lo, s14
	v_mul_lo_u32 v2, v14, s2
	s_and_b32 s14, s1, 0xff
	s_cmp_lt_i32 s14, 11
	v_ashrrev_i32_e32 v3, 31, v2
	v_add_co_u32 v4, vcc_lo, s8, v2
	v_add_co_ci_u32_e64 v5, null, s9, v3, vcc_lo
	s_cbranch_scc1 .LBB6_961
; %bb.952:
	s_and_b32 s15, 0xffff, s14
	s_mov_b32 s16, -1
	s_cmp_gt_i32 s15, 25
	s_mov_b32 s0, s7
	s_cbranch_scc0 .LBB6_989
; %bb.953:
	s_cmp_gt_i32 s15, 28
	s_mov_b32 s0, s7
	s_cbranch_scc0 .LBB6_973
; %bb.954:
	;; [unrolled: 4-line block ×4, first 2 shown]
	s_cmp_eq_u32 s15, 46
	s_mov_b32 s0, -1
	s_cbranch_scc0 .LBB6_962
; %bb.957:
	v_cvt_f32_f64_e32 v2, v[0:1]
	s_mov_b32 s0, 0
	s_mov_b32 s16, 0
	v_bfe_u32 v3, v2, 16, 1
	v_cmp_o_f32_e32 vcc_lo, v2, v2
	v_add3_u32 v2, v2, v3, 0x7fff
	v_mov_b32_e32 v3, 0x7fc0
	v_cndmask_b32_sdwa v2, v3, v2, vcc_lo dst_sel:DWORD dst_unused:UNUSED_PAD src0_sel:DWORD src1_sel:WORD_1
	global_store_dword v[4:5], v2, off
	s_branch .LBB6_963
.LBB6_958:
	s_or_b32 exec_lo, exec_lo, s13
	s_and_saveexec_b32 s0, s7
	s_cbranch_execnz .LBB6_1031
.LBB6_959:
	s_or_b32 exec_lo, exec_lo, s0
	s_and_saveexec_b32 s0, s16
	s_xor_b32 s0, exec_lo, s0
	s_cbranch_execz .LBB6_1032
.LBB6_960:
	v_cmp_neq_f64_e32 vcc_lo, 0, v[0:1]
	s_waitcnt vmcnt(0)
	v_cndmask_b32_e64 v2, 0, 1, vcc_lo
	global_store_byte v[4:5], v2, off
	s_or_b32 exec_lo, exec_lo, s0
	s_and_saveexec_b32 s0, s15
	s_xor_b32 s0, exec_lo, s0
	s_cbranch_execz .LBB6_1070
	s_branch .LBB6_1033
.LBB6_961:
	s_mov_b32 s17, 0
	s_mov_b32 s16, -1
	s_mov_b32 s0, s7
	s_branch .LBB6_1030
.LBB6_962:
	s_mov_b32 s16, 0
.LBB6_963:
	s_and_b32 vcc_lo, exec_lo, s16
	s_cbranch_vccz .LBB6_968
; %bb.964:
	s_cmp_eq_u32 s15, 44
	s_mov_b32 s0, -1
	s_cbranch_scc0 .LBB6_968
; %bb.965:
	v_cvt_f32_f64_e32 v2, v[0:1]
	v_mov_b32_e32 v3, 0xff
	s_mov_b32 s16, exec_lo
	v_bfe_u32 v6, v2, 23, 8
	v_cmpx_ne_u32_e32 0xff, v6
	s_cbranch_execz .LBB6_967
; %bb.966:
	v_and_b32_e32 v3, 0x400000, v2
	v_and_or_b32 v6, 0x3fffff, v2, v6
	v_lshrrev_b32_e32 v2, 23, v2
	v_cmp_ne_u32_e32 vcc_lo, 0, v3
	v_cmp_ne_u32_e64 s0, 0, v6
	s_and_b32 s0, vcc_lo, s0
	v_cndmask_b32_e64 v3, 0, 1, s0
	v_add_nc_u32_e32 v3, v2, v3
.LBB6_967:
	s_or_b32 exec_lo, exec_lo, s16
	s_mov_b32 s0, 0
	global_store_byte v[4:5], v3, off
.LBB6_968:
	s_mov_b32 s16, 0
.LBB6_969:
	s_and_b32 vcc_lo, exec_lo, s16
	s_cbranch_vccz .LBB6_972
; %bb.970:
	s_cmp_eq_u32 s15, 29
	s_mov_b32 s0, -1
	s_cbranch_scc0 .LBB6_972
; %bb.971:
	v_trunc_f64_e32 v[2:3], v[0:1]
	s_mov_b32 s0, 0
	s_mov_b32 s16, 0
	v_ldexp_f64 v[6:7], v[2:3], 0xffffffe0
	v_floor_f64_e32 v[6:7], v[6:7]
	v_fma_f64 v[2:3], 0xc1f00000, v[6:7], v[2:3]
	v_cvt_u32_f64_e32 v7, v[6:7]
	v_cvt_u32_f64_e32 v6, v[2:3]
	global_store_dwordx2 v[4:5], v[6:7], off
	s_branch .LBB6_973
.LBB6_972:
	s_mov_b32 s16, 0
.LBB6_973:
	s_and_b32 vcc_lo, exec_lo, s16
	s_cbranch_vccz .LBB6_988
; %bb.974:
	s_cmp_lt_i32 s15, 27
	s_mov_b32 s16, -1
	s_cbranch_scc1 .LBB6_980
; %bb.975:
	v_cvt_u32_f64_e32 v2, v[0:1]
	s_cmp_gt_i32 s15, 27
	s_cbranch_scc0 .LBB6_977
; %bb.976:
	s_mov_b32 s16, 0
	global_store_dword v[4:5], v2, off
.LBB6_977:
	s_andn2_b32 vcc_lo, exec_lo, s16
	s_cbranch_vccnz .LBB6_979
; %bb.978:
	global_store_short v[4:5], v2, off
.LBB6_979:
	s_mov_b32 s16, 0
.LBB6_980:
	s_andn2_b32 vcc_lo, exec_lo, s16
	s_cbranch_vccnz .LBB6_988
; %bb.981:
	v_cvt_f32_f64_e32 v2, v[0:1]
	v_mov_b32_e32 v6, 0x80
	s_mov_b32 s16, exec_lo
	v_and_b32_e32 v3, 0x7fffffff, v2
	v_cmpx_gt_u32_e32 0x43800000, v3
	s_cbranch_execz .LBB6_987
; %bb.982:
	v_cmp_lt_u32_e32 vcc_lo, 0x3bffffff, v3
	s_mov_b32 s17, 0
                                        ; implicit-def: $vgpr3
	s_and_saveexec_b32 s18, vcc_lo
	s_xor_b32 s18, exec_lo, s18
	s_cbranch_execz .LBB6_1085
; %bb.983:
	v_bfe_u32 v3, v2, 20, 1
	s_mov_b32 s17, exec_lo
	v_add3_u32 v3, v2, v3, 0x487ffff
	v_lshrrev_b32_e32 v3, 20, v3
	s_andn2_saveexec_b32 s18, s18
	s_cbranch_execnz .LBB6_1086
.LBB6_984:
	s_or_b32 exec_lo, exec_lo, s18
	v_mov_b32_e32 v6, 0
	s_and_saveexec_b32 s18, s17
.LBB6_985:
	v_lshrrev_b32_e32 v2, 24, v2
	v_and_or_b32 v6, 0x80, v2, v3
.LBB6_986:
	s_or_b32 exec_lo, exec_lo, s18
.LBB6_987:
	s_or_b32 exec_lo, exec_lo, s16
	global_store_byte v[4:5], v6, off
.LBB6_988:
	s_mov_b32 s16, 0
.LBB6_989:
	s_and_b32 vcc_lo, exec_lo, s16
	s_mov_b32 s16, 0
	s_cbranch_vccz .LBB6_1029
; %bb.990:
	s_cmp_gt_i32 s15, 22
	s_mov_b32 s17, -1
	s_cbranch_scc0 .LBB6_1022
; %bb.991:
	s_cmp_lt_i32 s15, 24
	s_cbranch_scc1 .LBB6_1011
; %bb.992:
	s_cmp_gt_i32 s15, 24
	s_cbranch_scc0 .LBB6_1000
; %bb.993:
	v_cvt_f32_f64_e32 v2, v[0:1]
	v_mov_b32_e32 v6, 0x80
	s_mov_b32 s17, exec_lo
	v_and_b32_e32 v3, 0x7fffffff, v2
	v_cmpx_gt_u32_e32 0x47800000, v3
	s_cbranch_execz .LBB6_999
; %bb.994:
	v_cmp_lt_u32_e32 vcc_lo, 0x37ffffff, v3
	s_mov_b32 s18, 0
                                        ; implicit-def: $vgpr3
	s_and_saveexec_b32 s19, vcc_lo
	s_xor_b32 s19, exec_lo, s19
	s_cbranch_execz .LBB6_1221
; %bb.995:
	v_bfe_u32 v3, v2, 21, 1
	s_mov_b32 s18, exec_lo
	v_add3_u32 v3, v2, v3, 0x88fffff
	v_lshrrev_b32_e32 v3, 21, v3
	s_andn2_saveexec_b32 s19, s19
	s_cbranch_execnz .LBB6_1222
.LBB6_996:
	s_or_b32 exec_lo, exec_lo, s19
	v_mov_b32_e32 v6, 0
	s_and_saveexec_b32 s19, s18
.LBB6_997:
	v_lshrrev_b32_e32 v2, 24, v2
	v_and_or_b32 v6, 0x80, v2, v3
.LBB6_998:
	s_or_b32 exec_lo, exec_lo, s19
.LBB6_999:
	s_or_b32 exec_lo, exec_lo, s17
	s_mov_b32 s17, 0
	global_store_byte v[4:5], v6, off
.LBB6_1000:
	s_and_b32 vcc_lo, exec_lo, s17
	s_cbranch_vccz .LBB6_1010
; %bb.1001:
	v_cvt_f32_f64_e32 v2, v[0:1]
	s_mov_b32 s17, exec_lo
                                        ; implicit-def: $vgpr3
	v_and_b32_e32 v6, 0x7fffffff, v2
	v_cmpx_gt_u32_e32 0x43f00000, v6
	s_xor_b32 s17, exec_lo, s17
	s_cbranch_execz .LBB6_1007
; %bb.1002:
	s_mov_b32 s18, exec_lo
                                        ; implicit-def: $vgpr3
	v_cmpx_lt_u32_e32 0x3c7fffff, v6
	s_xor_b32 s18, exec_lo, s18
; %bb.1003:
	v_bfe_u32 v3, v2, 20, 1
	v_add3_u32 v3, v2, v3, 0x407ffff
	v_and_b32_e32 v6, 0xff00000, v3
	v_lshrrev_b32_e32 v3, 20, v3
	v_cmp_ne_u32_e32 vcc_lo, 0x7f00000, v6
	v_cndmask_b32_e32 v3, 0x7e, v3, vcc_lo
; %bb.1004:
	s_andn2_saveexec_b32 s18, s18
; %bb.1005:
	v_add_f32_e64 v3, 0x46800000, |v2|
; %bb.1006:
	s_or_b32 exec_lo, exec_lo, s18
                                        ; implicit-def: $vgpr6
.LBB6_1007:
	s_andn2_saveexec_b32 s17, s17
; %bb.1008:
	v_mov_b32_e32 v3, 0x7f
	v_cmp_lt_u32_e32 vcc_lo, 0x7f800000, v6
	v_cndmask_b32_e32 v3, 0x7e, v3, vcc_lo
; %bb.1009:
	s_or_b32 exec_lo, exec_lo, s17
	v_lshrrev_b32_e32 v2, 24, v2
	v_and_or_b32 v2, 0x80, v2, v3
	global_store_byte v[4:5], v2, off
.LBB6_1010:
	s_mov_b32 s17, 0
.LBB6_1011:
	s_andn2_b32 vcc_lo, exec_lo, s17
	s_cbranch_vccnz .LBB6_1021
; %bb.1012:
	v_cvt_f32_f64_e32 v2, v[0:1]
	s_mov_b32 s17, exec_lo
                                        ; implicit-def: $vgpr3
	v_and_b32_e32 v6, 0x7fffffff, v2
	v_cmpx_gt_u32_e32 0x47800000, v6
	s_xor_b32 s17, exec_lo, s17
	s_cbranch_execz .LBB6_1018
; %bb.1013:
	s_mov_b32 s18, exec_lo
                                        ; implicit-def: $vgpr3
	v_cmpx_lt_u32_e32 0x387fffff, v6
	s_xor_b32 s18, exec_lo, s18
; %bb.1014:
	v_bfe_u32 v3, v2, 21, 1
	v_add3_u32 v3, v2, v3, 0x80fffff
	v_lshrrev_b32_e32 v3, 21, v3
; %bb.1015:
	s_andn2_saveexec_b32 s18, s18
; %bb.1016:
	v_add_f32_e64 v3, 0x43000000, |v2|
; %bb.1017:
	s_or_b32 exec_lo, exec_lo, s18
                                        ; implicit-def: $vgpr6
.LBB6_1018:
	s_andn2_saveexec_b32 s17, s17
; %bb.1019:
	v_mov_b32_e32 v3, 0x7f
	v_cmp_lt_u32_e32 vcc_lo, 0x7f800000, v6
	v_cndmask_b32_e32 v3, 0x7c, v3, vcc_lo
; %bb.1020:
	s_or_b32 exec_lo, exec_lo, s17
	v_lshrrev_b32_e32 v2, 24, v2
	v_and_or_b32 v2, 0x80, v2, v3
	global_store_byte v[4:5], v2, off
.LBB6_1021:
	s_mov_b32 s17, 0
.LBB6_1022:
	s_andn2_b32 vcc_lo, exec_lo, s17
	s_mov_b32 s17, 0
	s_cbranch_vccnz .LBB6_1030
; %bb.1023:
	s_cmp_gt_i32 s15, 14
	s_mov_b32 s17, -1
	s_cbranch_scc0 .LBB6_1027
; %bb.1024:
	s_cmp_eq_u32 s15, 15
	s_mov_b32 s0, -1
	s_cbranch_scc0 .LBB6_1026
; %bb.1025:
	v_cvt_f32_f64_e32 v2, v[0:1]
	s_mov_b32 s0, 0
	v_bfe_u32 v3, v2, 16, 1
	v_cmp_o_f32_e32 vcc_lo, v2, v2
	v_add3_u32 v2, v2, v3, 0x7fff
	v_mov_b32_e32 v3, 0x7fc0
	v_cndmask_b32_sdwa v2, v3, v2, vcc_lo dst_sel:DWORD dst_unused:UNUSED_PAD src0_sel:DWORD src1_sel:WORD_1
	global_store_short v[4:5], v2, off
.LBB6_1026:
	s_mov_b32 s17, 0
.LBB6_1027:
	s_and_b32 vcc_lo, exec_lo, s17
	s_mov_b32 s17, 0
	s_cbranch_vccz .LBB6_1030
; %bb.1028:
	s_cmp_lg_u32 s15, 11
	s_mov_b32 s17, -1
	s_cselect_b32 s15, -1, 0
	s_andn2_b32 s0, s0, exec_lo
	s_and_b32 s15, s15, exec_lo
	s_or_b32 s0, s0, s15
	s_branch .LBB6_1030
.LBB6_1029:
	s_mov_b32 s17, 0
.LBB6_1030:
	s_andn2_b32 s7, s7, exec_lo
	s_and_b32 s0, s0, exec_lo
	s_and_b32 s15, s16, exec_lo
	;; [unrolled: 1-line block ×3, first 2 shown]
	s_or_b32 s7, s7, s0
	s_or_b32 exec_lo, exec_lo, s13
	s_and_saveexec_b32 s0, s7
	s_cbranch_execz .LBB6_959
.LBB6_1031:
	s_or_b32 s12, s12, exec_lo
	s_andn2_b32 s16, s16, exec_lo
	s_trap 2
	s_or_b32 exec_lo, exec_lo, s0
	s_and_saveexec_b32 s0, s16
	s_xor_b32 s0, exec_lo, s0
	s_cbranch_execnz .LBB6_960
.LBB6_1032:
	s_or_b32 exec_lo, exec_lo, s0
	s_and_saveexec_b32 s0, s15
	s_xor_b32 s0, exec_lo, s0
	s_cbranch_execz .LBB6_1070
.LBB6_1033:
	s_sext_i32_i16 s13, s14
	s_mov_b32 s7, -1
	s_cmp_lt_i32 s13, 5
	s_cbranch_scc1 .LBB6_1054
; %bb.1034:
	s_cmp_lt_i32 s13, 8
	s_cbranch_scc1 .LBB6_1044
; %bb.1035:
	;; [unrolled: 3-line block ×3, first 2 shown]
	s_cmp_gt_i32 s13, 9
	s_cbranch_scc0 .LBB6_1038
; %bb.1037:
	s_waitcnt vmcnt(0)
	v_mov_b32_e32 v2, 0
	s_mov_b32 s7, 0
	v_mov_b32_e32 v3, v2
	global_store_dwordx4 v[4:5], v[0:3], off
.LBB6_1038:
	s_andn2_b32 vcc_lo, exec_lo, s7
	s_cbranch_vccnz .LBB6_1040
; %bb.1039:
	s_waitcnt vmcnt(0)
	v_cvt_f32_f64_e32 v2, v[0:1]
	v_mov_b32_e32 v3, 0
	global_store_dwordx2 v[4:5], v[2:3], off
.LBB6_1040:
	s_mov_b32 s7, 0
.LBB6_1041:
	s_andn2_b32 vcc_lo, exec_lo, s7
	s_cbranch_vccnz .LBB6_1043
; %bb.1042:
	s_waitcnt vmcnt(0)
	v_and_or_b32 v2, 0x1ff, v1, v0
	v_lshrrev_b32_e32 v3, 8, v1
	v_bfe_u32 v6, v1, 20, 11
	v_cmp_ne_u32_e32 vcc_lo, 0, v2
	v_sub_nc_u32_e32 v7, 0x3f1, v6
	v_add_nc_u32_e32 v6, 0xfffffc10, v6
	v_cndmask_b32_e64 v2, 0, 1, vcc_lo
	v_and_or_b32 v2, 0xffe, v3, v2
	v_med3_i32 v3, v7, 0, 13
	v_or_b32_e32 v7, 0x1000, v2
	v_lshrrev_b32_e32 v8, v3, v7
	v_lshlrev_b32_e32 v3, v3, v8
	v_cmp_ne_u32_e32 vcc_lo, v3, v7
	v_lshl_or_b32 v7, v6, 12, v2
	v_cndmask_b32_e64 v3, 0, 1, vcc_lo
	v_cmp_gt_i32_e32 vcc_lo, 1, v6
	v_or_b32_e32 v3, v8, v3
	v_cndmask_b32_e32 v3, v7, v3, vcc_lo
	v_and_b32_e32 v7, 7, v3
	v_lshrrev_b32_e32 v3, 2, v3
	v_cmp_lt_i32_e32 vcc_lo, 5, v7
	v_cndmask_b32_e64 v8, 0, 1, vcc_lo
	v_cmp_eq_u32_e32 vcc_lo, 3, v7
	v_cndmask_b32_e64 v7, 0, 1, vcc_lo
	v_cmp_ne_u32_e32 vcc_lo, 0, v2
	v_or_b32_e32 v7, v7, v8
	v_mov_b32_e32 v8, 0x7e00
	v_add_nc_u32_e32 v3, v3, v7
	v_cndmask_b32_e32 v2, 0x7c00, v8, vcc_lo
	v_cmp_gt_i32_e32 vcc_lo, 31, v6
	v_cndmask_b32_e32 v3, 0x7c00, v3, vcc_lo
	v_cmp_eq_u32_e32 vcc_lo, 0x40f, v6
	v_cndmask_b32_e32 v2, v3, v2, vcc_lo
	v_lshrrev_b32_e32 v3, 16, v1
	v_and_or_b32 v2, 0x8000, v3, v2
	v_and_b32_e32 v2, 0xffff, v2
	global_store_dword v[4:5], v2, off
.LBB6_1043:
	s_mov_b32 s7, 0
.LBB6_1044:
	s_andn2_b32 vcc_lo, exec_lo, s7
	s_cbranch_vccnz .LBB6_1053
; %bb.1045:
	s_sext_i32_i16 s13, s14
	s_mov_b32 s7, -1
	s_cmp_lt_i32 s13, 6
	s_cbranch_scc1 .LBB6_1051
; %bb.1046:
	s_cmp_gt_i32 s13, 6
	s_cbranch_scc0 .LBB6_1048
; %bb.1047:
	s_mov_b32 s7, 0
	global_store_dwordx2 v[4:5], v[0:1], off
.LBB6_1048:
	s_andn2_b32 vcc_lo, exec_lo, s7
	s_cbranch_vccnz .LBB6_1050
; %bb.1049:
	s_waitcnt vmcnt(0)
	v_cvt_f32_f64_e32 v2, v[0:1]
	global_store_dword v[4:5], v2, off
.LBB6_1050:
	s_mov_b32 s7, 0
.LBB6_1051:
	s_andn2_b32 vcc_lo, exec_lo, s7
	s_cbranch_vccnz .LBB6_1053
; %bb.1052:
	s_waitcnt vmcnt(0)
	v_and_or_b32 v2, 0x1ff, v1, v0
	v_lshrrev_b32_e32 v3, 8, v1
	v_bfe_u32 v6, v1, 20, 11
	v_cmp_ne_u32_e32 vcc_lo, 0, v2
	v_sub_nc_u32_e32 v7, 0x3f1, v6
	v_add_nc_u32_e32 v6, 0xfffffc10, v6
	v_cndmask_b32_e64 v2, 0, 1, vcc_lo
	v_and_or_b32 v2, 0xffe, v3, v2
	v_med3_i32 v3, v7, 0, 13
	v_or_b32_e32 v7, 0x1000, v2
	v_lshrrev_b32_e32 v8, v3, v7
	v_lshlrev_b32_e32 v3, v3, v8
	v_cmp_ne_u32_e32 vcc_lo, v3, v7
	v_lshl_or_b32 v7, v6, 12, v2
	v_cndmask_b32_e64 v3, 0, 1, vcc_lo
	v_cmp_gt_i32_e32 vcc_lo, 1, v6
	v_or_b32_e32 v3, v8, v3
	v_cndmask_b32_e32 v3, v7, v3, vcc_lo
	v_and_b32_e32 v7, 7, v3
	v_lshrrev_b32_e32 v3, 2, v3
	v_cmp_lt_i32_e32 vcc_lo, 5, v7
	v_cndmask_b32_e64 v8, 0, 1, vcc_lo
	v_cmp_eq_u32_e32 vcc_lo, 3, v7
	v_cndmask_b32_e64 v7, 0, 1, vcc_lo
	v_cmp_ne_u32_e32 vcc_lo, 0, v2
	v_or_b32_e32 v7, v7, v8
	v_mov_b32_e32 v8, 0x7e00
	v_add_nc_u32_e32 v3, v3, v7
	v_cndmask_b32_e32 v2, 0x7c00, v8, vcc_lo
	v_cmp_gt_i32_e32 vcc_lo, 31, v6
	v_cndmask_b32_e32 v3, 0x7c00, v3, vcc_lo
	v_cmp_eq_u32_e32 vcc_lo, 0x40f, v6
	v_cndmask_b32_e32 v2, v3, v2, vcc_lo
	v_lshrrev_b32_e32 v3, 16, v1
	v_and_or_b32 v2, 0x8000, v3, v2
	global_store_short v[4:5], v2, off
.LBB6_1053:
	s_mov_b32 s7, 0
.LBB6_1054:
	s_andn2_b32 vcc_lo, exec_lo, s7
	s_cbranch_vccnz .LBB6_1070
; %bb.1055:
	s_sext_i32_i16 s13, s14
	s_mov_b32 s7, -1
	s_cmp_lt_i32 s13, 2
	s_cbranch_scc1 .LBB6_1065
; %bb.1056:
	s_cmp_lt_i32 s13, 3
	s_cbranch_scc1 .LBB6_1062
; %bb.1057:
	s_cmp_gt_i32 s13, 3
	s_cbranch_scc0 .LBB6_1059
; %bb.1058:
	s_waitcnt vmcnt(0)
	v_trunc_f64_e32 v[2:3], v[0:1]
	s_mov_b32 s7, 0
	v_ldexp_f64 v[6:7], v[2:3], 0xffffffe0
	v_floor_f64_e32 v[6:7], v[6:7]
	v_fma_f64 v[2:3], 0xc1f00000, v[6:7], v[2:3]
	v_cvt_i32_f64_e32 v7, v[6:7]
	v_cvt_u32_f64_e32 v6, v[2:3]
	global_store_dwordx2 v[4:5], v[6:7], off
.LBB6_1059:
	s_andn2_b32 vcc_lo, exec_lo, s7
	s_cbranch_vccnz .LBB6_1061
; %bb.1060:
	s_waitcnt vmcnt(0)
	v_cvt_i32_f64_e32 v2, v[0:1]
	global_store_dword v[4:5], v2, off
.LBB6_1061:
	s_mov_b32 s7, 0
.LBB6_1062:
	s_andn2_b32 vcc_lo, exec_lo, s7
	s_cbranch_vccnz .LBB6_1064
; %bb.1063:
	s_waitcnt vmcnt(0)
	v_cvt_i32_f64_e32 v2, v[0:1]
	global_store_short v[4:5], v2, off
.LBB6_1064:
	s_mov_b32 s7, 0
.LBB6_1065:
	s_andn2_b32 vcc_lo, exec_lo, s7
	s_cbranch_vccnz .LBB6_1070
; %bb.1066:
	s_sext_i32_i16 s7, s14
	s_cmp_gt_i32 s7, 0
	s_mov_b32 s7, -1
	s_cbranch_scc0 .LBB6_1068
; %bb.1067:
	s_waitcnt vmcnt(0)
	v_cvt_i32_f64_e32 v2, v[0:1]
	s_mov_b32 s7, 0
	global_store_byte v[4:5], v2, off
.LBB6_1068:
	s_andn2_b32 vcc_lo, exec_lo, s7
	s_cbranch_vccnz .LBB6_1070
; %bb.1069:
	v_trunc_f64_e32 v[0:1], v[0:1]
	s_waitcnt vmcnt(0)
	v_ldexp_f64 v[2:3], v[0:1], 0xffffffe0
	v_floor_f64_e32 v[2:3], v[2:3]
	v_fma_f64 v[0:1], 0xc1f00000, v[2:3], v[0:1]
	v_cvt_u32_f64_e32 v0, v[0:1]
	global_store_byte v[4:5], v0, off
.LBB6_1070:
	s_or_b32 exec_lo, exec_lo, s0
	s_and_b32 s7, s12, exec_lo
                                        ; implicit-def: $vgpr14
.LBB6_1071:
	s_or_saveexec_b32 s6, s6
	s_mov_b32 s0, 0
                                        ; implicit-def: $sgpr12
                                        ; implicit-def: $vgpr0_vgpr1
                                        ; implicit-def: $vgpr12_vgpr13
	s_xor_b32 exec_lo, exec_lo, s6
	s_cbranch_execz .LBB6_1708
; %bb.1072:
	v_mul_lo_u32 v6, s3, v14
	s_and_b32 s5, 0xffff, s5
	s_cmp_lt_i32 s5, 11
	v_ashrrev_i32_e32 v1, 31, v6
	v_add_co_u32 v0, vcc_lo, s10, v6
	v_add_co_ci_u32_e64 v1, null, s11, v1, vcc_lo
	s_cbranch_scc1 .LBB6_1079
; %bb.1073:
	s_cmp_gt_i32 s5, 25
	s_mov_b32 s12, 0
	s_cbranch_scc0 .LBB6_1081
; %bb.1074:
	s_cmp_gt_i32 s5, 28
	s_cbranch_scc0 .LBB6_1082
; %bb.1075:
	s_cmp_gt_i32 s5, 43
	;; [unrolled: 3-line block ×3, first 2 shown]
	s_cbranch_scc0 .LBB6_1084
; %bb.1077:
	s_cmp_eq_u32 s5, 46
	s_cbranch_scc0 .LBB6_1087
; %bb.1078:
	global_load_dword v2, v[0:1], off
	s_mov_b32 s13, -1
	s_waitcnt vmcnt(0)
	v_lshlrev_b32_e32 v2, 16, v2
	v_cvt_f64_f32_e32 v[2:3], v2
	s_branch .LBB6_1089
.LBB6_1079:
	s_mov_b32 s13, 0
	s_mov_b32 s4, s7
                                        ; implicit-def: $vgpr2_vgpr3
	s_cbranch_execnz .LBB6_1152
.LBB6_1080:
	s_andn2_b32 vcc_lo, exec_lo, s13
	s_cbranch_vccz .LBB6_1197
	s_branch .LBB6_1706
.LBB6_1081:
	s_mov_b32 s13, 0
                                        ; implicit-def: $vgpr2_vgpr3
	s_cbranch_execnz .LBB6_1119
	s_branch .LBB6_1148
.LBB6_1082:
	s_mov_b32 s4, -1
	s_mov_b32 s13, 0
                                        ; implicit-def: $vgpr2_vgpr3
	s_branch .LBB6_1098
.LBB6_1083:
	s_mov_b32 s13, 0
                                        ; implicit-def: $vgpr2_vgpr3
	s_cbranch_execnz .LBB6_1094
	s_branch .LBB6_1097
.LBB6_1084:
	s_mov_b32 s4, -1
	s_branch .LBB6_1088
.LBB6_1085:
	s_andn2_saveexec_b32 s18, s18
	s_cbranch_execz .LBB6_984
.LBB6_1086:
	v_add_f32_e64 v3, 0x46000000, |v2|
	s_andn2_b32 s17, s17, exec_lo
	v_and_b32_e32 v3, 0xff, v3
	v_cmp_ne_u32_e32 vcc_lo, 0, v3
	s_and_b32 s19, vcc_lo, exec_lo
	s_or_b32 s17, s17, s19
	s_or_b32 exec_lo, exec_lo, s18
	v_mov_b32_e32 v6, 0
	s_and_saveexec_b32 s18, s17
	s_cbranch_execnz .LBB6_985
	s_branch .LBB6_986
.LBB6_1087:
	s_mov_b32 s0, -1
.LBB6_1088:
	s_mov_b32 s13, 0
                                        ; implicit-def: $vgpr2_vgpr3
.LBB6_1089:
	s_and_b32 vcc_lo, exec_lo, s4
	s_cbranch_vccz .LBB6_1092
; %bb.1090:
	s_cmp_eq_u32 s5, 44
	s_cbranch_scc0 .LBB6_1093
; %bb.1091:
	global_load_ubyte v4, v[0:1], off
	s_mov_b32 s0, 0
	s_mov_b32 s13, -1
	s_waitcnt vmcnt(0)
	v_lshlrev_b32_e32 v2, 23, v4
	v_cmp_ne_u32_e32 vcc_lo, 0xff, v4
	v_cvt_f64_f32_e32 v[2:3], v2
	v_cndmask_b32_e32 v2, 0x20000000, v2, vcc_lo
	v_cndmask_b32_e32 v3, 0x7ff80000, v3, vcc_lo
	v_cmp_ne_u32_e32 vcc_lo, 0, v4
	v_cndmask_b32_e32 v3, 0x38000000, v3, vcc_lo
	v_cndmask_b32_e32 v2, 0, v2, vcc_lo
.LBB6_1092:
	s_branch .LBB6_1097
.LBB6_1093:
	s_mov_b32 s0, -1
                                        ; implicit-def: $vgpr2_vgpr3
	s_branch .LBB6_1097
.LBB6_1094:
	s_cmp_eq_u32 s5, 29
	s_cbranch_scc0 .LBB6_1096
; %bb.1095:
	global_load_dwordx2 v[2:3], v[0:1], off
	s_mov_b32 s0, 0
	s_mov_b32 s13, -1
	s_mov_b32 s4, 0
	s_waitcnt vmcnt(0)
	v_cvt_f64_u32_e32 v[3:4], v3
	v_cvt_f64_u32_e32 v[7:8], v2
	v_ldexp_f64 v[3:4], v[3:4], 32
	v_add_f64 v[2:3], v[3:4], v[7:8]
	s_branch .LBB6_1098
.LBB6_1096:
	s_mov_b32 s0, -1
                                        ; implicit-def: $vgpr2_vgpr3
.LBB6_1097:
	s_mov_b32 s4, 0
.LBB6_1098:
	s_and_b32 vcc_lo, exec_lo, s4
	s_cbranch_vccz .LBB6_1118
; %bb.1099:
	s_cmp_lt_i32 s5, 27
	s_cbranch_scc1 .LBB6_1102
; %bb.1100:
	s_cmp_gt_i32 s5, 27
	s_cbranch_scc0 .LBB6_1103
; %bb.1101:
	global_load_dword v2, v[0:1], off
	s_mov_b32 s4, 0
	s_waitcnt vmcnt(0)
	v_cvt_f64_u32_e32 v[2:3], v2
	s_branch .LBB6_1104
.LBB6_1102:
	s_mov_b32 s4, -1
                                        ; implicit-def: $vgpr2_vgpr3
	s_branch .LBB6_1107
.LBB6_1103:
	s_mov_b32 s4, -1
                                        ; implicit-def: $vgpr2_vgpr3
.LBB6_1104:
	s_andn2_b32 vcc_lo, exec_lo, s4
	s_cbranch_vccnz .LBB6_1106
; %bb.1105:
	global_load_ushort v2, v[0:1], off
	s_waitcnt vmcnt(0)
	v_cvt_f64_u32_e32 v[2:3], v2
.LBB6_1106:
	s_mov_b32 s4, 0
.LBB6_1107:
	s_andn2_b32 vcc_lo, exec_lo, s4
	s_cbranch_vccnz .LBB6_1117
; %bb.1108:
	global_load_ubyte v4, v[0:1], off
	s_mov_b32 s4, 0
	s_mov_b32 s13, exec_lo
	s_waitcnt vmcnt(0)
	v_cmpx_lt_i16_e32 0x7f, v4
	s_xor_b32 s13, exec_lo, s13
	s_cbranch_execz .LBB6_1112
; %bb.1109:
	s_mov_b32 s4, -1
	s_mov_b32 s14, exec_lo
	v_cmpx_eq_u16_e32 0x80, v4
; %bb.1110:
	s_xor_b32 s4, exec_lo, -1
; %bb.1111:
	s_or_b32 exec_lo, exec_lo, s14
	s_and_b32 s4, s4, exec_lo
.LBB6_1112:
	s_or_saveexec_b32 s13, s13
	v_bfrev_b32_e32 v2, 4
	v_mov_b32_e32 v3, 0x7ff80000
	s_xor_b32 exec_lo, exec_lo, s13
; %bb.1113:
	v_cmp_ne_u16_e32 vcc_lo, 0, v4
	v_mov_b32_e32 v2, 0
	v_mov_b32_e32 v3, 0
	s_andn2_b32 s4, s4, exec_lo
	s_and_b32 s14, vcc_lo, exec_lo
	s_or_b32 s4, s4, s14
; %bb.1114:
	s_or_b32 exec_lo, exec_lo, s13
	s_and_saveexec_b32 s13, s4
	s_cbranch_execz .LBB6_1116
; %bb.1115:
	v_and_b32_e32 v2, 0xffff, v4
	v_lshlrev_b32_e32 v4, 24, v4
	v_and_b32_e32 v3, 7, v2
	v_bfe_u32 v8, v2, 3, 4
	v_ffbh_u32_e32 v5, v3
	v_cmp_eq_u32_e32 vcc_lo, 0, v8
	v_min_u32_e32 v5, 32, v5
	v_subrev_nc_u32_e32 v7, 28, v5
	v_sub_nc_u32_e32 v5, 29, v5
	v_lshlrev_b32_e32 v2, v7, v2
	v_cndmask_b32_e32 v5, v8, v5, vcc_lo
	v_and_b32_e32 v2, 7, v2
	v_cndmask_b32_e32 v2, v3, v2, vcc_lo
	v_and_b32_e32 v3, 0x80000000, v4
	v_lshl_add_u32 v4, v5, 23, 0x3b800000
	v_lshlrev_b32_e32 v2, 20, v2
	v_or3_b32 v2, v3, v4, v2
	v_cvt_f64_f32_e32 v[2:3], v2
.LBB6_1116:
	s_or_b32 exec_lo, exec_lo, s13
.LBB6_1117:
	s_mov_b32 s13, -1
.LBB6_1118:
	s_branch .LBB6_1148
.LBB6_1119:
	s_cmp_gt_i32 s5, 22
	s_cbranch_scc0 .LBB6_1131
; %bb.1120:
	s_cmp_lt_i32 s5, 24
	s_cbranch_scc1 .LBB6_1132
; %bb.1121:
	s_cmp_gt_i32 s5, 24
	s_cbranch_scc0 .LBB6_1133
; %bb.1122:
	global_load_ubyte v4, v[0:1], off
	s_mov_b32 s4, 0
	s_mov_b32 s12, exec_lo
	s_waitcnt vmcnt(0)
	v_cmpx_lt_i16_e32 0x7f, v4
	s_xor_b32 s12, exec_lo, s12
	s_cbranch_execz .LBB6_1126
; %bb.1123:
	s_mov_b32 s4, -1
	s_mov_b32 s13, exec_lo
	v_cmpx_eq_u16_e32 0x80, v4
; %bb.1124:
	s_xor_b32 s4, exec_lo, -1
; %bb.1125:
	s_or_b32 exec_lo, exec_lo, s13
	s_and_b32 s4, s4, exec_lo
.LBB6_1126:
	s_or_saveexec_b32 s12, s12
	v_bfrev_b32_e32 v2, 4
	v_mov_b32_e32 v3, 0x7ff80000
	s_xor_b32 exec_lo, exec_lo, s12
; %bb.1127:
	v_cmp_ne_u16_e32 vcc_lo, 0, v4
	v_mov_b32_e32 v2, 0
	v_mov_b32_e32 v3, 0
	s_andn2_b32 s4, s4, exec_lo
	s_and_b32 s13, vcc_lo, exec_lo
	s_or_b32 s4, s4, s13
; %bb.1128:
	s_or_b32 exec_lo, exec_lo, s12
	s_and_saveexec_b32 s12, s4
	s_cbranch_execz .LBB6_1130
; %bb.1129:
	v_and_b32_e32 v2, 0xffff, v4
	v_lshlrev_b32_e32 v4, 24, v4
	v_and_b32_e32 v3, 3, v2
	v_bfe_u32 v8, v2, 2, 5
	v_ffbh_u32_e32 v5, v3
	v_cmp_eq_u32_e32 vcc_lo, 0, v8
	v_min_u32_e32 v5, 32, v5
	v_subrev_nc_u32_e32 v7, 29, v5
	v_sub_nc_u32_e32 v5, 30, v5
	v_lshlrev_b32_e32 v2, v7, v2
	v_cndmask_b32_e32 v5, v8, v5, vcc_lo
	v_and_b32_e32 v2, 3, v2
	v_cndmask_b32_e32 v2, v3, v2, vcc_lo
	v_and_b32_e32 v3, 0x80000000, v4
	v_lshl_add_u32 v4, v5, 23, 0x37800000
	v_lshlrev_b32_e32 v2, 21, v2
	v_or3_b32 v2, v3, v4, v2
	v_cvt_f64_f32_e32 v[2:3], v2
.LBB6_1130:
	s_or_b32 exec_lo, exec_lo, s12
	s_mov_b32 s4, 0
	s_branch .LBB6_1134
.LBB6_1131:
                                        ; implicit-def: $vgpr2_vgpr3
	s_mov_b32 s12, 0
	s_branch .LBB6_1140
.LBB6_1132:
	s_mov_b32 s4, -1
                                        ; implicit-def: $vgpr2_vgpr3
	s_branch .LBB6_1137
.LBB6_1133:
	s_mov_b32 s4, -1
                                        ; implicit-def: $vgpr2_vgpr3
.LBB6_1134:
	s_and_b32 vcc_lo, exec_lo, s4
	s_cbranch_vccz .LBB6_1136
; %bb.1135:
	global_load_ubyte v2, v[0:1], off
	s_waitcnt vmcnt(0)
	v_lshlrev_b32_e32 v2, 24, v2
	v_and_b32_e32 v3, 0x7f000000, v2
	v_ffbh_u32_e32 v4, v3
	v_add_nc_u32_e32 v7, 0x1000000, v3
	v_cmp_ne_u32_e32 vcc_lo, 0, v3
	v_min_u32_e32 v4, 32, v4
	v_sub_nc_u32_e64 v4, v4, 4 clamp
	v_lshlrev_b32_e32 v5, v4, v3
	v_lshlrev_b32_e32 v4, 23, v4
	v_lshrrev_b32_e32 v5, 4, v5
	v_sub_nc_u32_e32 v4, v5, v4
	v_ashrrev_i32_e32 v5, 8, v7
	v_add_nc_u32_e32 v4, 0x3c000000, v4
	v_and_or_b32 v4, 0x7f800000, v5, v4
	v_cndmask_b32_e32 v3, 0, v4, vcc_lo
	v_and_or_b32 v2, 0x80000000, v2, v3
	v_cvt_f64_f32_e32 v[2:3], v2
.LBB6_1136:
	s_mov_b32 s4, 0
.LBB6_1137:
	s_andn2_b32 vcc_lo, exec_lo, s4
	s_cbranch_vccnz .LBB6_1139
; %bb.1138:
	global_load_ubyte v2, v[0:1], off
	s_waitcnt vmcnt(0)
	v_lshlrev_b32_e32 v3, 25, v2
	v_lshlrev_b16 v2, 8, v2
	v_lshrrev_b32_e32 v4, 4, v3
	v_and_or_b32 v5, 0x7f00, v2, 0.5
	v_cmp_gt_u32_e32 vcc_lo, 0x8000000, v3
	v_bfe_i32 v2, v2, 0, 16
	v_or_b32_e32 v4, 0x70000000, v4
	v_add_f32_e32 v5, -0.5, v5
	v_mul_f32_e32 v4, 0x7800000, v4
	v_cndmask_b32_e32 v3, v4, v5, vcc_lo
	v_and_or_b32 v2, 0x80000000, v2, v3
	v_cvt_f64_f32_e32 v[2:3], v2
.LBB6_1139:
	s_mov_b32 s13, -1
	s_mov_b32 s12, 0
	s_cbranch_execnz .LBB6_1148
.LBB6_1140:
	s_cmp_gt_i32 s5, 14
	s_cbranch_scc0 .LBB6_1143
; %bb.1141:
	s_cmp_eq_u32 s5, 15
	s_cbranch_scc0 .LBB6_1144
; %bb.1142:
	global_load_ushort v2, v[0:1], off
	s_mov_b32 s0, 0
	s_mov_b32 s13, -1
	s_waitcnt vmcnt(0)
	v_lshlrev_b32_e32 v2, 16, v2
	v_cvt_f64_f32_e32 v[2:3], v2
	s_branch .LBB6_1145
.LBB6_1143:
	s_mov_b32 s4, -1
                                        ; implicit-def: $vgpr2_vgpr3
	s_branch .LBB6_1146
.LBB6_1144:
	s_mov_b32 s0, -1
                                        ; implicit-def: $vgpr2_vgpr3
.LBB6_1145:
	s_mov_b32 s4, 0
.LBB6_1146:
	s_and_b32 vcc_lo, exec_lo, s4
	s_cbranch_vccz .LBB6_1148
; %bb.1147:
	s_cmp_lg_u32 s5, 11
	s_mov_b32 s12, -1
	s_cselect_b32 s0, -1, 0
.LBB6_1148:
	s_and_b32 vcc_lo, exec_lo, s0
	s_mov_b32 s4, s7
	s_cbranch_vccnz .LBB6_1219
; %bb.1149:
	s_andn2_b32 vcc_lo, exec_lo, s12
	s_cbranch_vccnz .LBB6_1151
.LBB6_1150:
	global_load_ubyte v2, v[0:1], off
	s_mov_b32 s13, -1
	s_waitcnt vmcnt(0)
	v_cmp_ne_u16_e32 vcc_lo, 0, v2
	v_mov_b32_e32 v2, 0
	v_cndmask_b32_e64 v3, 0, 0x3ff00000, vcc_lo
.LBB6_1151:
	s_branch .LBB6_1080
.LBB6_1152:
	s_cmp_lt_i32 s5, 5
	s_cbranch_scc1 .LBB6_1157
; %bb.1153:
	s_cmp_lt_i32 s5, 8
	s_cbranch_scc1 .LBB6_1158
; %bb.1154:
	;; [unrolled: 3-line block ×3, first 2 shown]
	s_cmp_gt_i32 s5, 9
	s_cbranch_scc0 .LBB6_1160
; %bb.1156:
	global_load_dwordx2 v[2:3], v[0:1], off
	s_mov_b32 s0, 0
	s_branch .LBB6_1161
.LBB6_1157:
                                        ; implicit-def: $vgpr2_vgpr3
	s_branch .LBB6_1178
.LBB6_1158:
                                        ; implicit-def: $vgpr2_vgpr3
	s_branch .LBB6_1167
.LBB6_1159:
	s_mov_b32 s0, -1
                                        ; implicit-def: $vgpr2_vgpr3
	s_branch .LBB6_1164
.LBB6_1160:
	s_mov_b32 s0, -1
                                        ; implicit-def: $vgpr2_vgpr3
.LBB6_1161:
	s_andn2_b32 vcc_lo, exec_lo, s0
	s_cbranch_vccnz .LBB6_1163
; %bb.1162:
	global_load_dword v2, v[0:1], off
	s_waitcnt vmcnt(0)
	v_cvt_f64_f32_e32 v[2:3], v2
.LBB6_1163:
	s_mov_b32 s0, 0
.LBB6_1164:
	s_andn2_b32 vcc_lo, exec_lo, s0
	s_cbranch_vccnz .LBB6_1166
; %bb.1165:
	global_load_dword v2, v[0:1], off
	s_waitcnt vmcnt(0)
	v_cvt_f32_f16_e32 v2, v2
	v_cvt_f64_f32_e32 v[2:3], v2
.LBB6_1166:
	s_cbranch_execnz .LBB6_1177
.LBB6_1167:
	s_cmp_lt_i32 s5, 6
	s_cbranch_scc1 .LBB6_1170
; %bb.1168:
	s_cmp_gt_i32 s5, 6
	s_cbranch_scc0 .LBB6_1171
; %bb.1169:
	global_load_dwordx2 v[2:3], v[0:1], off
	s_mov_b32 s0, 0
	s_branch .LBB6_1172
.LBB6_1170:
	s_mov_b32 s0, -1
                                        ; implicit-def: $vgpr2_vgpr3
	s_branch .LBB6_1175
.LBB6_1171:
	s_mov_b32 s0, -1
                                        ; implicit-def: $vgpr2_vgpr3
.LBB6_1172:
	s_andn2_b32 vcc_lo, exec_lo, s0
	s_cbranch_vccnz .LBB6_1174
; %bb.1173:
	global_load_dword v2, v[0:1], off
	s_waitcnt vmcnt(0)
	v_cvt_f64_f32_e32 v[2:3], v2
.LBB6_1174:
	s_mov_b32 s0, 0
.LBB6_1175:
	s_andn2_b32 vcc_lo, exec_lo, s0
	s_cbranch_vccnz .LBB6_1177
; %bb.1176:
	global_load_ushort v2, v[0:1], off
	s_waitcnt vmcnt(0)
	v_cvt_f32_f16_e32 v2, v2
	v_cvt_f64_f32_e32 v[2:3], v2
.LBB6_1177:
	s_cbranch_execnz .LBB6_1196
.LBB6_1178:
	s_cmp_lt_i32 s5, 2
	s_cbranch_scc1 .LBB6_1182
; %bb.1179:
	s_cmp_lt_i32 s5, 3
	s_cbranch_scc1 .LBB6_1183
; %bb.1180:
	s_cmp_gt_i32 s5, 3
	s_cbranch_scc0 .LBB6_1184
; %bb.1181:
	global_load_dwordx2 v[2:3], v[0:1], off
	s_mov_b32 s0, 0
	s_waitcnt vmcnt(0)
	v_cvt_f64_i32_e32 v[3:4], v3
	v_cvt_f64_u32_e32 v[7:8], v2
	v_ldexp_f64 v[3:4], v[3:4], 32
	v_add_f64 v[2:3], v[3:4], v[7:8]
	s_branch .LBB6_1185
.LBB6_1182:
                                        ; implicit-def: $vgpr2_vgpr3
	s_branch .LBB6_1191
.LBB6_1183:
	s_mov_b32 s0, -1
                                        ; implicit-def: $vgpr2_vgpr3
	s_branch .LBB6_1188
.LBB6_1184:
	s_mov_b32 s0, -1
                                        ; implicit-def: $vgpr2_vgpr3
.LBB6_1185:
	s_andn2_b32 vcc_lo, exec_lo, s0
	s_cbranch_vccnz .LBB6_1187
; %bb.1186:
	global_load_dword v2, v[0:1], off
	s_waitcnt vmcnt(0)
	v_cvt_f64_i32_e32 v[2:3], v2
.LBB6_1187:
	s_mov_b32 s0, 0
.LBB6_1188:
	s_andn2_b32 vcc_lo, exec_lo, s0
	s_cbranch_vccnz .LBB6_1190
; %bb.1189:
	global_load_sshort v2, v[0:1], off
	s_waitcnt vmcnt(0)
	v_cvt_f64_i32_e32 v[2:3], v2
.LBB6_1190:
	s_cbranch_execnz .LBB6_1196
.LBB6_1191:
	s_cmp_gt_i32 s5, 0
	s_mov_b32 s0, 0
	s_cbranch_scc0 .LBB6_1193
; %bb.1192:
	global_load_sbyte v2, v[0:1], off
	s_waitcnt vmcnt(0)
	v_cvt_f64_i32_e32 v[2:3], v2
	s_branch .LBB6_1194
.LBB6_1193:
	s_mov_b32 s0, -1
                                        ; implicit-def: $vgpr2_vgpr3
.LBB6_1194:
	s_andn2_b32 vcc_lo, exec_lo, s0
	s_cbranch_vccnz .LBB6_1196
; %bb.1195:
	global_load_ubyte v0, v[0:1], off
	s_waitcnt vmcnt(0)
	v_cvt_f64_u32_e32 v[2:3], v0
.LBB6_1196:
.LBB6_1197:
	v_mov_b32_e32 v0, 0
	v_mov_b32_e32 v1, 0
	s_mov_b32 s12, exec_lo
	s_waitcnt vmcnt(0)
	v_cmpx_neq_f64_e64 0x7ff00000, |v[2:3]|
	s_cbranch_execz .LBB6_1207
; %bb.1198:
	s_mov_b32 s13, exec_lo
                                        ; implicit-def: $vgpr0_vgpr1
	v_cmpx_nlt_f64_e64 |v[2:3]|, 0.5
	s_xor_b32 s13, exec_lo, s13
	s_cbranch_execz .LBB6_1204
; %bb.1199:
	v_cmp_ngt_f64_e64 s0, 0x41d00000, |v[2:3]|
                                        ; implicit-def: $vgpr7
                                        ; implicit-def: $vgpr0_vgpr1
                                        ; implicit-def: $vgpr4_vgpr5
	s_and_saveexec_b32 s14, s0
	s_xor_b32 s0, exec_lo, s14
	s_cbranch_execz .LBB6_1201
; %bb.1200:
	v_ldexp_f64 v[0:1], |v[2:3]|, 0xffffff80
	v_cmp_le_f64_e64 vcc_lo, 0x7b000000, |v[2:3]|
	v_trig_preop_f64 v[4:5], |v[2:3]|, 0
	v_and_b32_e32 v7, 0x7fffffff, v3
	v_trig_preop_f64 v[19:20], |v[2:3]|, 2
	v_mov_b32_e32 v27, 0
	s_mov_b32 s14, 0x54442d18
	s_mov_b32 s15, 0x3ff921fb
	;; [unrolled: 1-line block ×4, first 2 shown]
	v_cndmask_b32_e32 v1, v7, v1, vcc_lo
	v_cndmask_b32_e32 v0, v2, v0, vcc_lo
	v_trig_preop_f64 v[7:8], |v[2:3]|, 1
	v_mul_f64 v[9:10], v[4:5], v[0:1]
	v_mul_f64 v[25:26], v[19:20], v[0:1]
	v_mul_f64 v[11:12], v[7:8], v[0:1]
	v_fma_f64 v[4:5], v[4:5], v[0:1], -v[9:10]
	v_fma_f64 v[7:8], v[7:8], v[0:1], -v[11:12]
	;; [unrolled: 1-line block ×3, first 2 shown]
	v_add_f64 v[15:16], v[11:12], v[4:5]
	v_add_f64 v[17:18], v[15:16], -v[11:12]
	v_add_f64 v[23:24], v[9:10], v[15:16]
	v_add_f64 v[21:22], v[15:16], -v[17:18]
	v_add_f64 v[4:5], v[4:5], -v[17:18]
	v_ldexp_f64 v[17:18], v[23:24], -2
	v_add_f64 v[9:10], v[23:24], -v[9:10]
	v_add_f64 v[11:12], v[11:12], -v[21:22]
	v_add_f64 v[21:22], v[25:26], v[7:8]
	v_cmp_neq_f64_e64 vcc_lo, 0x7ff00000, |v[17:18]|
	v_add_f64 v[9:10], v[15:16], -v[9:10]
	v_add_f64 v[4:5], v[4:5], v[11:12]
	v_fract_f64_e32 v[11:12], v[17:18]
	v_add_f64 v[15:16], v[21:22], v[4:5]
	v_ldexp_f64 v[11:12], v[11:12], 2
	v_add_f64 v[17:18], v[9:10], v[15:16]
	v_cndmask_b32_e32 v12, 0, v12, vcc_lo
	v_cndmask_b32_e32 v11, 0, v11, vcc_lo
	v_add_f64 v[23:24], v[17:18], v[11:12]
	v_add_f64 v[9:10], v[17:18], -v[9:10]
	v_cmp_gt_f64_e32 vcc_lo, 0, v[23:24]
	v_add_f64 v[23:24], v[21:22], -v[25:26]
	v_cndmask_b32_e64 v28, 0, 0x40100000, vcc_lo
	v_add_f64 v[32:33], v[21:22], -v[23:24]
	v_add_f64 v[7:8], v[7:8], -v[23:24]
	v_add_f64 v[11:12], v[11:12], v[27:28]
	v_add_f64 v[28:29], v[15:16], -v[21:22]
	v_add_f64 v[23:24], v[25:26], -v[32:33]
	v_add_f64 v[30:31], v[17:18], v[11:12]
	;; [unrolled: 3-line block ×3, first 2 shown]
	v_cvt_i32_f64_e32 v13, v[30:31]
	v_add_f64 v[21:22], v[21:22], -v[34:35]
	v_cvt_f64_i32_e32 v[28:29], v13
	v_add_f64 v[4:5], v[4:5], v[21:22]
	v_add_f64 v[11:12], v[11:12], -v[28:29]
	v_add_f64 v[4:5], v[7:8], v[4:5]
	v_add_f64 v[7:8], v[15:16], -v[9:10]
	v_add_f64 v[19:20], v[17:18], v[11:12]
	v_add_f64 v[0:1], v[0:1], v[4:5]
	v_add_f64 v[4:5], v[19:20], -v[11:12]
	v_cmp_le_f64_e32 vcc_lo, 0.5, v[19:20]
	v_add_f64 v[0:1], v[7:8], v[0:1]
	v_add_f64 v[4:5], v[17:18], -v[4:5]
	v_cndmask_b32_e64 v28, 0, 0x3ff00000, vcc_lo
	v_add_co_ci_u32_e64 v7, null, 0, v13, vcc_lo
	v_add_f64 v[0:1], v[0:1], v[4:5]
	v_add_f64 v[4:5], v[19:20], -v[27:28]
	v_add_f64 v[8:9], v[4:5], v[0:1]
	v_mul_f64 v[10:11], v[8:9], s[14:15]
	v_add_f64 v[4:5], v[8:9], -v[4:5]
	v_fma_f64 v[12:13], v[8:9], s[14:15], -v[10:11]
	v_add_f64 v[0:1], v[0:1], -v[4:5]
	v_fma_f64 v[4:5], v[8:9], s[16:17], v[12:13]
	v_fma_f64 v[4:5], v[0:1], s[14:15], v[4:5]
	v_add_f64 v[0:1], v[10:11], v[4:5]
	v_add_f64 v[8:9], v[0:1], -v[10:11]
	v_add_f64 v[4:5], v[4:5], -v[8:9]
.LBB6_1201:
	s_andn2_saveexec_b32 s0, s0
	s_cbranch_execz .LBB6_1203
; %bb.1202:
	s_mov_b32 s14, 0x6dc9c883
	s_mov_b32 s15, 0x3fe45f30
	;; [unrolled: 1-line block ×3, first 2 shown]
	v_mul_f64 v[0:1], |v[2:3]|, s[14:15]
	s_mov_b32 s14, 0x54442d18
	s_mov_b32 s15, 0xbff921fb
	;; [unrolled: 1-line block ×3, first 2 shown]
	v_rndne_f64_e32 v[7:8], v[0:1]
	v_fma_f64 v[0:1], v[7:8], s[14:15], |v[2:3]|
	v_mul_f64 v[4:5], v[7:8], s[16:17]
	s_mov_b32 s14, 0x252049c0
	s_mov_b32 s15, 0xb97b839a
	v_fma_f64 v[11:12], v[7:8], s[16:17], v[0:1]
	v_add_f64 v[9:10], v[0:1], v[4:5]
	s_mov_b32 s17, 0x3c91a626
	v_add_f64 v[0:1], v[0:1], -v[9:10]
	v_add_f64 v[9:10], v[9:10], -v[11:12]
	v_add_f64 v[0:1], v[0:1], v[4:5]
	v_fma_f64 v[4:5], v[7:8], s[16:17], v[4:5]
	v_add_f64 v[0:1], v[9:10], v[0:1]
	v_add_f64 v[0:1], v[0:1], -v[4:5]
	v_fma_f64 v[4:5], v[7:8], s[14:15], v[0:1]
	v_cvt_i32_f64_e32 v7, v[7:8]
	v_add_f64 v[0:1], v[11:12], v[4:5]
	v_add_f64 v[9:10], v[0:1], -v[11:12]
	v_add_f64 v[4:5], v[4:5], -v[9:10]
.LBB6_1203:
	s_or_b32 exec_lo, exec_lo, s0
	v_mul_f64 v[8:9], v[0:1], v[0:1]
	s_mov_b32 s14, 0xb42fdfa7
	s_mov_b32 s16, 0xf9a43bb8
	;; [unrolled: 1-line block ×6, first 2 shown]
	v_mul_f64 v[19:20], v[4:5], 0.5
	v_cmp_class_f64_e64 s0, v[2:3], 0x1f8
	v_fma_f64 v[10:11], v[8:9], s[16:17], s[14:15]
	s_mov_b32 s14, 0x9037ab78
	s_mov_b32 s16, 0x46cc5e42
	s_mov_b32 s15, 0x3e21eeb6
	s_mov_b32 s17, 0xbda907db
	v_mul_f64 v[15:16], v[8:9], 0.5
	v_fma_f64 v[12:13], v[8:9], s[16:17], s[14:15]
	s_mov_b32 s14, 0xa17f65f6
	s_mov_b32 s16, 0x19e83e5c
	;; [unrolled: 1-line block ×4, first 2 shown]
	v_mul_f64 v[21:22], v[0:1], -v[8:9]
	v_fma_f64 v[10:11], v[8:9], v[10:11], s[18:19]
	v_add_f64 v[17:18], -v[15:16], 1.0
	v_fma_f64 v[12:13], v[8:9], v[12:13], s[14:15]
	s_mov_b32 s14, 0x19f4ec90
	s_mov_b32 s15, 0x3efa01a0
	v_fma_f64 v[10:11], v[8:9], v[10:11], s[16:17]
	s_mov_b32 s16, 0x11110bb3
	s_mov_b32 s17, 0x3f811111
	v_add_f64 v[23:24], -v[17:18], 1.0
	v_fma_f64 v[12:13], v[8:9], v[12:13], s[14:15]
	s_mov_b32 s14, 0x16c16967
	s_mov_b32 s15, 0xbf56c16c
	v_fma_f64 v[10:11], v[8:9], v[10:11], s[16:17]
	v_add_f64 v[15:16], v[23:24], -v[15:16]
	v_fma_f64 v[12:13], v[8:9], v[12:13], s[14:15]
	s_mov_b32 s15, 0x3fa55555
	s_mov_b32 s14, 0x55555555
	v_fma_f64 v[10:11], v[21:22], v[10:11], v[19:20]
	v_mul_f64 v[19:20], v[8:9], v[8:9]
	v_fma_f64 v[15:16], v[0:1], -v[4:5], v[15:16]
	v_fma_f64 v[12:13], v[8:9], v[12:13], s[14:15]
	s_mov_b32 s15, 0xbfc55555
	v_fma_f64 v[4:5], v[8:9], v[10:11], -v[4:5]
	v_fma_f64 v[8:9], v[19:20], v[12:13], v[15:16]
	v_fma_f64 v[4:5], v[21:22], s[14:15], v[4:5]
	v_add_f64 v[8:9], v[17:18], v[8:9]
	v_add_f64 v[0:1], v[0:1], -v[4:5]
	v_and_b32_e32 v4, 1, v7
	v_cmp_eq_u32_e32 vcc_lo, 0, v4
	v_lshlrev_b32_e32 v4, 30, v7
	v_xor_b32_e32 v4, v4, v3
	v_and_b32_e32 v4, 0x80000000, v4
	v_cndmask_b32_e32 v1, v9, v1, vcc_lo
	v_cndmask_b32_e32 v0, v8, v0, vcc_lo
	v_xor_b32_e32 v1, v1, v4
	v_cndmask_b32_e64 v0, 0, v0, s0
	v_cndmask_b32_e64 v1, 0x7ff80000, v1, s0
	v_div_scale_f64 v[4:5], null, v[2:3], v[2:3], v[0:1]
	v_rcp_f64_e32 v[7:8], v[4:5]
	v_fma_f64 v[9:10], -v[4:5], v[7:8], 1.0
	v_fma_f64 v[7:8], v[7:8], v[9:10], v[7:8]
	v_fma_f64 v[9:10], -v[4:5], v[7:8], 1.0
	v_fma_f64 v[7:8], v[7:8], v[9:10], v[7:8]
	v_div_scale_f64 v[9:10], vcc_lo, v[0:1], v[2:3], v[0:1]
	v_mul_f64 v[11:12], v[9:10], v[7:8]
	v_fma_f64 v[4:5], -v[4:5], v[11:12], v[9:10]
	v_div_fmas_f64 v[4:5], v[4:5], v[7:8], v[11:12]
	v_div_fixup_f64 v[0:1], v[4:5], v[2:3], v[0:1]
                                        ; implicit-def: $vgpr2_vgpr3
.LBB6_1204:
	s_andn2_saveexec_b32 s0, s13
	s_cbranch_execz .LBB6_1206
; %bb.1205:
	v_mul_f64 v[0:1], v[2:3], v[2:3]
	s_mov_b32 s14, 0x67f544e4
	s_mov_b32 s16, 0x13a86d09
	;; [unrolled: 1-line block ×4, first 2 shown]
	v_fma_f64 v[2:3], v[0:1], s[16:17], s[14:15]
	s_mov_b32 s14, 0xa556c734
	s_mov_b32 s15, 0x3ec71de3
	v_fma_f64 v[2:3], v[0:1], v[2:3], s[14:15]
	s_mov_b32 s14, 0x1a01a01a
	s_mov_b32 s15, 0xbf2a01a0
	;; [unrolled: 3-line block ×4, first 2 shown]
	v_fma_f64 v[2:3], v[0:1], v[2:3], s[14:15]
	v_fma_f64 v[0:1], v[0:1], v[2:3], 1.0
.LBB6_1206:
	s_or_b32 exec_lo, exec_lo, s0
.LBB6_1207:
	s_or_b32 exec_lo, exec_lo, s12
	s_lshl_b32 s3, s3, 7
	s_cmp_lt_i32 s5, 11
	v_add_nc_u32_e32 v8, s3, v6
	v_ashrrev_i32_e32 v2, 31, v8
	v_add_co_u32 v4, vcc_lo, s10, v8
	v_add_co_ci_u32_e64 v5, null, s11, v2, vcc_lo
	s_cbranch_scc1 .LBB6_1214
; %bb.1208:
	s_cmp_gt_i32 s5, 25
	s_mov_b32 s12, 0
	s_cbranch_scc0 .LBB6_1216
; %bb.1209:
	s_cmp_gt_i32 s5, 28
	s_cbranch_scc0 .LBB6_1217
; %bb.1210:
	s_cmp_gt_i32 s5, 43
	;; [unrolled: 3-line block ×3, first 2 shown]
	s_cbranch_scc0 .LBB6_1220
; %bb.1212:
	s_cmp_eq_u32 s5, 46
	s_mov_b32 s14, 0
	s_cbranch_scc0 .LBB6_1223
; %bb.1213:
	global_load_dword v2, v[4:5], off
	s_mov_b32 s0, 0
	s_mov_b32 s13, -1
	s_waitcnt vmcnt(0)
	v_lshlrev_b32_e32 v2, 16, v2
	v_cvt_f64_f32_e32 v[2:3], v2
	s_branch .LBB6_1225
.LBB6_1214:
	s_mov_b32 s13, 0
                                        ; implicit-def: $vgpr2_vgpr3
	s_cbranch_execnz .LBB6_1290
.LBB6_1215:
	s_andn2_b32 vcc_lo, exec_lo, s13
	s_cbranch_vccnz .LBB6_1706
	s_branch .LBB6_1337
.LBB6_1216:
	s_mov_b32 s13, 0
	s_mov_b32 s0, 0
                                        ; implicit-def: $vgpr2_vgpr3
	s_cbranch_execnz .LBB6_1256
	s_branch .LBB6_1286
.LBB6_1217:
	s_mov_b32 s14, -1
	s_mov_b32 s13, 0
	s_mov_b32 s0, 0
                                        ; implicit-def: $vgpr2_vgpr3
	s_branch .LBB6_1235
.LBB6_1218:
	s_mov_b32 s14, -1
	s_mov_b32 s13, 0
	s_mov_b32 s0, 0
                                        ; implicit-def: $vgpr2_vgpr3
	s_branch .LBB6_1230
.LBB6_1219:
	s_or_b32 s4, s7, exec_lo
	s_trap 2
	s_cbranch_execz .LBB6_1150
	s_branch .LBB6_1151
.LBB6_1220:
	s_mov_b32 s14, -1
	s_mov_b32 s13, 0
	s_mov_b32 s0, 0
	s_branch .LBB6_1224
.LBB6_1221:
	s_andn2_saveexec_b32 s19, s19
	s_cbranch_execz .LBB6_996
.LBB6_1222:
	v_add_f32_e64 v3, 0x42800000, |v2|
	s_andn2_b32 s18, s18, exec_lo
	v_and_b32_e32 v3, 0xff, v3
	v_cmp_ne_u32_e32 vcc_lo, 0, v3
	s_and_b32 s20, vcc_lo, exec_lo
	s_or_b32 s18, s18, s20
	s_or_b32 exec_lo, exec_lo, s19
	v_mov_b32_e32 v6, 0
	s_and_saveexec_b32 s19, s18
	s_cbranch_execnz .LBB6_997
	s_branch .LBB6_998
.LBB6_1223:
	s_mov_b32 s0, -1
	s_mov_b32 s13, 0
.LBB6_1224:
                                        ; implicit-def: $vgpr2_vgpr3
.LBB6_1225:
	s_and_b32 vcc_lo, exec_lo, s14
	s_cbranch_vccz .LBB6_1229
; %bb.1226:
	s_cmp_eq_u32 s5, 44
	s_cbranch_scc0 .LBB6_1228
; %bb.1227:
	global_load_ubyte v6, v[4:5], off
	s_mov_b32 s0, 0
	s_mov_b32 s13, -1
	s_waitcnt vmcnt(0)
	v_lshlrev_b32_e32 v2, 23, v6
	v_cmp_ne_u32_e32 vcc_lo, 0xff, v6
	v_cvt_f64_f32_e32 v[2:3], v2
	v_cndmask_b32_e32 v2, 0x20000000, v2, vcc_lo
	v_cndmask_b32_e32 v3, 0x7ff80000, v3, vcc_lo
	v_cmp_ne_u32_e32 vcc_lo, 0, v6
	v_cndmask_b32_e32 v3, 0x38000000, v3, vcc_lo
	v_cndmask_b32_e32 v2, 0, v2, vcc_lo
	s_branch .LBB6_1229
.LBB6_1228:
	s_mov_b32 s0, -1
                                        ; implicit-def: $vgpr2_vgpr3
.LBB6_1229:
	s_mov_b32 s14, 0
.LBB6_1230:
	s_and_b32 vcc_lo, exec_lo, s14
	s_cbranch_vccz .LBB6_1234
; %bb.1231:
	s_cmp_eq_u32 s5, 29
	s_cbranch_scc0 .LBB6_1233
; %bb.1232:
	global_load_dwordx2 v[2:3], v[4:5], off
	s_mov_b32 s0, 0
	s_mov_b32 s13, -1
	s_mov_b32 s14, 0
	s_waitcnt vmcnt(0)
	v_cvt_f64_u32_e32 v[6:7], v3
	v_cvt_f64_u32_e32 v[2:3], v2
	v_ldexp_f64 v[6:7], v[6:7], 32
	v_add_f64 v[2:3], v[6:7], v[2:3]
	s_branch .LBB6_1235
.LBB6_1233:
	s_mov_b32 s0, -1
                                        ; implicit-def: $vgpr2_vgpr3
.LBB6_1234:
	s_mov_b32 s14, 0
.LBB6_1235:
	s_and_b32 vcc_lo, exec_lo, s14
	s_cbranch_vccz .LBB6_1255
; %bb.1236:
	s_cmp_lt_i32 s5, 27
	s_cbranch_scc1 .LBB6_1239
; %bb.1237:
	s_cmp_gt_i32 s5, 27
	s_cbranch_scc0 .LBB6_1240
; %bb.1238:
	global_load_dword v2, v[4:5], off
	s_mov_b32 s13, 0
	s_waitcnt vmcnt(0)
	v_cvt_f64_u32_e32 v[2:3], v2
	s_branch .LBB6_1241
.LBB6_1239:
	s_mov_b32 s13, -1
                                        ; implicit-def: $vgpr2_vgpr3
	s_branch .LBB6_1244
.LBB6_1240:
	s_mov_b32 s13, -1
                                        ; implicit-def: $vgpr2_vgpr3
.LBB6_1241:
	s_andn2_b32 vcc_lo, exec_lo, s13
	s_cbranch_vccnz .LBB6_1243
; %bb.1242:
	global_load_ushort v2, v[4:5], off
	s_waitcnt vmcnt(0)
	v_cvt_f64_u32_e32 v[2:3], v2
.LBB6_1243:
	s_mov_b32 s13, 0
.LBB6_1244:
	s_andn2_b32 vcc_lo, exec_lo, s13
	s_cbranch_vccnz .LBB6_1254
; %bb.1245:
	global_load_ubyte v6, v[4:5], off
	s_mov_b32 s13, 0
	s_mov_b32 s14, exec_lo
	s_waitcnt vmcnt(0)
	v_cmpx_lt_i16_e32 0x7f, v6
	s_xor_b32 s14, exec_lo, s14
	s_cbranch_execz .LBB6_1249
; %bb.1246:
	s_mov_b32 s13, -1
	s_mov_b32 s15, exec_lo
	v_cmpx_eq_u16_e32 0x80, v6
; %bb.1247:
	s_xor_b32 s13, exec_lo, -1
; %bb.1248:
	s_or_b32 exec_lo, exec_lo, s15
	s_and_b32 s13, s13, exec_lo
.LBB6_1249:
	s_or_saveexec_b32 s14, s14
	v_bfrev_b32_e32 v2, 4
	v_mov_b32_e32 v3, 0x7ff80000
	s_xor_b32 exec_lo, exec_lo, s14
; %bb.1250:
	v_cmp_ne_u16_e32 vcc_lo, 0, v6
	v_mov_b32_e32 v2, 0
	v_mov_b32_e32 v3, 0
	s_andn2_b32 s13, s13, exec_lo
	s_and_b32 s15, vcc_lo, exec_lo
	s_or_b32 s13, s13, s15
; %bb.1251:
	s_or_b32 exec_lo, exec_lo, s14
	s_and_saveexec_b32 s14, s13
	s_cbranch_execz .LBB6_1253
; %bb.1252:
	v_and_b32_e32 v2, 0xffff, v6
	v_lshlrev_b32_e32 v6, 24, v6
	v_and_b32_e32 v3, 7, v2
	v_bfe_u32 v10, v2, 3, 4
	v_ffbh_u32_e32 v7, v3
	v_cmp_eq_u32_e32 vcc_lo, 0, v10
	v_min_u32_e32 v7, 32, v7
	v_subrev_nc_u32_e32 v9, 28, v7
	v_sub_nc_u32_e32 v7, 29, v7
	v_lshlrev_b32_e32 v2, v9, v2
	v_cndmask_b32_e32 v7, v10, v7, vcc_lo
	v_and_b32_e32 v2, 7, v2
	v_cndmask_b32_e32 v2, v3, v2, vcc_lo
	v_and_b32_e32 v3, 0x80000000, v6
	v_lshl_add_u32 v6, v7, 23, 0x3b800000
	v_lshlrev_b32_e32 v2, 20, v2
	v_or3_b32 v2, v3, v6, v2
	v_cvt_f64_f32_e32 v[2:3], v2
.LBB6_1253:
	s_or_b32 exec_lo, exec_lo, s14
.LBB6_1254:
	s_mov_b32 s13, -1
.LBB6_1255:
	s_branch .LBB6_1286
.LBB6_1256:
	s_cmp_gt_i32 s5, 22
	s_cbranch_scc0 .LBB6_1268
; %bb.1257:
	s_cmp_lt_i32 s5, 24
	s_cbranch_scc1 .LBB6_1269
; %bb.1258:
	s_cmp_gt_i32 s5, 24
	s_cbranch_scc0 .LBB6_1270
; %bb.1259:
	global_load_ubyte v6, v[4:5], off
	s_mov_b32 s13, exec_lo
	s_waitcnt vmcnt(0)
	v_cmpx_lt_i16_e32 0x7f, v6
	s_xor_b32 s13, exec_lo, s13
	s_cbranch_execz .LBB6_1263
; %bb.1260:
	s_mov_b32 s12, -1
	s_mov_b32 s14, exec_lo
	v_cmpx_eq_u16_e32 0x80, v6
; %bb.1261:
	s_xor_b32 s12, exec_lo, -1
; %bb.1262:
	s_or_b32 exec_lo, exec_lo, s14
	s_and_b32 s12, s12, exec_lo
.LBB6_1263:
	s_or_saveexec_b32 s13, s13
	v_bfrev_b32_e32 v2, 4
	v_mov_b32_e32 v3, 0x7ff80000
	s_xor_b32 exec_lo, exec_lo, s13
; %bb.1264:
	v_cmp_ne_u16_e32 vcc_lo, 0, v6
	v_mov_b32_e32 v2, 0
	v_mov_b32_e32 v3, 0
	s_andn2_b32 s12, s12, exec_lo
	s_and_b32 s14, vcc_lo, exec_lo
	s_or_b32 s12, s12, s14
; %bb.1265:
	s_or_b32 exec_lo, exec_lo, s13
	s_and_saveexec_b32 s13, s12
	s_cbranch_execz .LBB6_1267
; %bb.1266:
	v_and_b32_e32 v2, 0xffff, v6
	v_lshlrev_b32_e32 v6, 24, v6
	v_and_b32_e32 v3, 3, v2
	v_bfe_u32 v10, v2, 2, 5
	v_ffbh_u32_e32 v7, v3
	v_cmp_eq_u32_e32 vcc_lo, 0, v10
	v_min_u32_e32 v7, 32, v7
	v_subrev_nc_u32_e32 v9, 29, v7
	v_sub_nc_u32_e32 v7, 30, v7
	v_lshlrev_b32_e32 v2, v9, v2
	v_cndmask_b32_e32 v7, v10, v7, vcc_lo
	v_and_b32_e32 v2, 3, v2
	v_cndmask_b32_e32 v2, v3, v2, vcc_lo
	v_and_b32_e32 v3, 0x80000000, v6
	v_lshl_add_u32 v6, v7, 23, 0x37800000
	v_lshlrev_b32_e32 v2, 21, v2
	v_or3_b32 v2, v3, v6, v2
	v_cvt_f64_f32_e32 v[2:3], v2
.LBB6_1267:
	s_or_b32 exec_lo, exec_lo, s13
	s_mov_b32 s12, 0
	s_branch .LBB6_1271
.LBB6_1268:
	s_mov_b32 s12, -1
                                        ; implicit-def: $vgpr2_vgpr3
	s_branch .LBB6_1277
.LBB6_1269:
	s_mov_b32 s12, -1
                                        ; implicit-def: $vgpr2_vgpr3
	s_branch .LBB6_1274
.LBB6_1270:
	s_mov_b32 s12, -1
                                        ; implicit-def: $vgpr2_vgpr3
.LBB6_1271:
	s_and_b32 vcc_lo, exec_lo, s12
	s_cbranch_vccz .LBB6_1273
; %bb.1272:
	global_load_ubyte v2, v[4:5], off
	s_waitcnt vmcnt(0)
	v_lshlrev_b32_e32 v2, 24, v2
	v_and_b32_e32 v3, 0x7f000000, v2
	v_ffbh_u32_e32 v6, v3
	v_add_nc_u32_e32 v9, 0x1000000, v3
	v_cmp_ne_u32_e32 vcc_lo, 0, v3
	v_min_u32_e32 v6, 32, v6
	v_sub_nc_u32_e64 v6, v6, 4 clamp
	v_lshlrev_b32_e32 v7, v6, v3
	v_lshlrev_b32_e32 v6, 23, v6
	v_lshrrev_b32_e32 v7, 4, v7
	v_sub_nc_u32_e32 v6, v7, v6
	v_ashrrev_i32_e32 v7, 8, v9
	v_add_nc_u32_e32 v6, 0x3c000000, v6
	v_and_or_b32 v6, 0x7f800000, v7, v6
	v_cndmask_b32_e32 v3, 0, v6, vcc_lo
	v_and_or_b32 v2, 0x80000000, v2, v3
	v_cvt_f64_f32_e32 v[2:3], v2
.LBB6_1273:
	s_mov_b32 s12, 0
.LBB6_1274:
	s_andn2_b32 vcc_lo, exec_lo, s12
	s_cbranch_vccnz .LBB6_1276
; %bb.1275:
	global_load_ubyte v2, v[4:5], off
	s_waitcnt vmcnt(0)
	v_lshlrev_b32_e32 v3, 25, v2
	v_lshlrev_b16 v2, 8, v2
	v_lshrrev_b32_e32 v6, 4, v3
	v_and_or_b32 v7, 0x7f00, v2, 0.5
	v_cmp_gt_u32_e32 vcc_lo, 0x8000000, v3
	v_bfe_i32 v2, v2, 0, 16
	v_or_b32_e32 v6, 0x70000000, v6
	v_add_f32_e32 v7, -0.5, v7
	v_mul_f32_e32 v6, 0x7800000, v6
	v_cndmask_b32_e32 v3, v6, v7, vcc_lo
	v_and_or_b32 v2, 0x80000000, v2, v3
	v_cvt_f64_f32_e32 v[2:3], v2
.LBB6_1276:
	s_mov_b32 s12, 0
	s_mov_b32 s13, -1
.LBB6_1277:
	s_andn2_b32 vcc_lo, exec_lo, s12
	s_mov_b32 s12, 0
	s_cbranch_vccnz .LBB6_1286
; %bb.1278:
	s_cmp_gt_i32 s5, 14
	s_cbranch_scc0 .LBB6_1281
; %bb.1279:
	s_cmp_eq_u32 s5, 15
	s_cbranch_scc0 .LBB6_1282
; %bb.1280:
	global_load_ushort v2, v[4:5], off
	s_mov_b32 s0, 0
	s_mov_b32 s13, -1
	s_waitcnt vmcnt(0)
	v_lshlrev_b32_e32 v2, 16, v2
	v_cvt_f64_f32_e32 v[2:3], v2
	s_branch .LBB6_1284
.LBB6_1281:
	s_mov_b32 s12, -1
	s_branch .LBB6_1283
.LBB6_1282:
	s_mov_b32 s0, -1
.LBB6_1283:
                                        ; implicit-def: $vgpr2_vgpr3
.LBB6_1284:
	s_and_b32 vcc_lo, exec_lo, s12
	s_mov_b32 s12, 0
	s_cbranch_vccz .LBB6_1286
; %bb.1285:
	s_cmp_lg_u32 s5, 11
	s_mov_b32 s12, -1
	s_cselect_b32 s0, -1, 0
.LBB6_1286:
	s_and_b32 vcc_lo, exec_lo, s0
	s_cbranch_vccnz .LBB6_1359
; %bb.1287:
	s_andn2_b32 vcc_lo, exec_lo, s12
	s_cbranch_vccnz .LBB6_1289
.LBB6_1288:
	global_load_ubyte v2, v[4:5], off
	s_mov_b32 s13, -1
	s_waitcnt vmcnt(0)
	v_cmp_ne_u16_e32 vcc_lo, 0, v2
	v_mov_b32_e32 v2, 0
	v_cndmask_b32_e64 v3, 0, 0x3ff00000, vcc_lo
.LBB6_1289:
	s_branch .LBB6_1215
.LBB6_1290:
	s_cmp_lt_i32 s5, 5
	s_cbranch_scc1 .LBB6_1295
; %bb.1291:
	s_cmp_lt_i32 s5, 8
	s_cbranch_scc1 .LBB6_1296
; %bb.1292:
	;; [unrolled: 3-line block ×3, first 2 shown]
	s_cmp_gt_i32 s5, 9
	s_cbranch_scc0 .LBB6_1298
; %bb.1294:
	global_load_dwordx2 v[2:3], v[4:5], off
	s_mov_b32 s0, 0
	s_branch .LBB6_1299
.LBB6_1295:
                                        ; implicit-def: $vgpr2_vgpr3
	s_branch .LBB6_1317
.LBB6_1296:
	s_mov_b32 s0, -1
                                        ; implicit-def: $vgpr2_vgpr3
	s_branch .LBB6_1305
.LBB6_1297:
	s_mov_b32 s0, -1
                                        ; implicit-def: $vgpr2_vgpr3
	s_branch .LBB6_1302
.LBB6_1298:
	s_mov_b32 s0, -1
                                        ; implicit-def: $vgpr2_vgpr3
.LBB6_1299:
	s_andn2_b32 vcc_lo, exec_lo, s0
	s_cbranch_vccnz .LBB6_1301
; %bb.1300:
	global_load_dword v2, v[4:5], off
	s_waitcnt vmcnt(0)
	v_cvt_f64_f32_e32 v[2:3], v2
.LBB6_1301:
	s_mov_b32 s0, 0
.LBB6_1302:
	s_andn2_b32 vcc_lo, exec_lo, s0
	s_cbranch_vccnz .LBB6_1304
; %bb.1303:
	global_load_dword v2, v[4:5], off
	s_waitcnt vmcnt(0)
	v_cvt_f32_f16_e32 v2, v2
	v_cvt_f64_f32_e32 v[2:3], v2
.LBB6_1304:
	s_mov_b32 s0, 0
.LBB6_1305:
	s_andn2_b32 vcc_lo, exec_lo, s0
	s_cbranch_vccnz .LBB6_1316
; %bb.1306:
	s_cmp_lt_i32 s5, 6
	s_cbranch_scc1 .LBB6_1309
; %bb.1307:
	s_cmp_gt_i32 s5, 6
	s_cbranch_scc0 .LBB6_1310
; %bb.1308:
	global_load_dwordx2 v[2:3], v[4:5], off
	s_mov_b32 s0, 0
	s_branch .LBB6_1311
.LBB6_1309:
	s_mov_b32 s0, -1
                                        ; implicit-def: $vgpr2_vgpr3
	s_branch .LBB6_1314
.LBB6_1310:
	s_mov_b32 s0, -1
                                        ; implicit-def: $vgpr2_vgpr3
.LBB6_1311:
	s_andn2_b32 vcc_lo, exec_lo, s0
	s_cbranch_vccnz .LBB6_1313
; %bb.1312:
	global_load_dword v2, v[4:5], off
	s_waitcnt vmcnt(0)
	v_cvt_f64_f32_e32 v[2:3], v2
.LBB6_1313:
	s_mov_b32 s0, 0
.LBB6_1314:
	s_andn2_b32 vcc_lo, exec_lo, s0
	s_cbranch_vccnz .LBB6_1316
; %bb.1315:
	global_load_ushort v2, v[4:5], off
	s_waitcnt vmcnt(0)
	v_cvt_f32_f16_e32 v2, v2
	v_cvt_f64_f32_e32 v[2:3], v2
.LBB6_1316:
	s_cbranch_execnz .LBB6_1336
.LBB6_1317:
	s_cmp_lt_i32 s5, 2
	s_cbranch_scc1 .LBB6_1321
; %bb.1318:
	s_cmp_lt_i32 s5, 3
	s_cbranch_scc1 .LBB6_1322
; %bb.1319:
	s_cmp_gt_i32 s5, 3
	s_cbranch_scc0 .LBB6_1323
; %bb.1320:
	global_load_dwordx2 v[2:3], v[4:5], off
	s_mov_b32 s0, 0
	s_waitcnt vmcnt(0)
	v_cvt_f64_i32_e32 v[6:7], v3
	v_cvt_f64_u32_e32 v[2:3], v2
	v_ldexp_f64 v[6:7], v[6:7], 32
	v_add_f64 v[2:3], v[6:7], v[2:3]
	s_branch .LBB6_1324
.LBB6_1321:
	s_mov_b32 s0, -1
                                        ; implicit-def: $vgpr2_vgpr3
	s_branch .LBB6_1330
.LBB6_1322:
	s_mov_b32 s0, -1
                                        ; implicit-def: $vgpr2_vgpr3
	s_branch .LBB6_1327
.LBB6_1323:
	s_mov_b32 s0, -1
                                        ; implicit-def: $vgpr2_vgpr3
.LBB6_1324:
	s_andn2_b32 vcc_lo, exec_lo, s0
	s_cbranch_vccnz .LBB6_1326
; %bb.1325:
	global_load_dword v2, v[4:5], off
	s_waitcnt vmcnt(0)
	v_cvt_f64_i32_e32 v[2:3], v2
.LBB6_1326:
	s_mov_b32 s0, 0
.LBB6_1327:
	s_andn2_b32 vcc_lo, exec_lo, s0
	s_cbranch_vccnz .LBB6_1329
; %bb.1328:
	global_load_sshort v2, v[4:5], off
	s_waitcnt vmcnt(0)
	v_cvt_f64_i32_e32 v[2:3], v2
.LBB6_1329:
	s_mov_b32 s0, 0
.LBB6_1330:
	s_andn2_b32 vcc_lo, exec_lo, s0
	s_cbranch_vccnz .LBB6_1336
; %bb.1331:
	s_cmp_gt_i32 s5, 0
	s_mov_b32 s0, 0
	s_cbranch_scc0 .LBB6_1333
; %bb.1332:
	global_load_sbyte v2, v[4:5], off
	s_waitcnt vmcnt(0)
	v_cvt_f64_i32_e32 v[2:3], v2
	s_branch .LBB6_1334
.LBB6_1333:
	s_mov_b32 s0, -1
                                        ; implicit-def: $vgpr2_vgpr3
.LBB6_1334:
	s_andn2_b32 vcc_lo, exec_lo, s0
	s_cbranch_vccnz .LBB6_1336
; %bb.1335:
	global_load_ubyte v2, v[4:5], off
	s_waitcnt vmcnt(0)
	v_cvt_f64_u32_e32 v[2:3], v2
.LBB6_1336:
.LBB6_1337:
	v_mov_b32_e32 v4, 0
	v_mov_b32_e32 v5, 0
	s_mov_b32 s12, exec_lo
	s_waitcnt vmcnt(0)
	v_cmpx_neq_f64_e64 0x7ff00000, |v[2:3]|
	s_cbranch_execz .LBB6_1347
; %bb.1338:
	s_mov_b32 s13, exec_lo
                                        ; implicit-def: $vgpr4_vgpr5
	v_cmpx_nlt_f64_e64 |v[2:3]|, 0.5
	s_xor_b32 s13, exec_lo, s13
	s_cbranch_execz .LBB6_1344
; %bb.1339:
	v_cmp_ngt_f64_e64 s0, 0x41d00000, |v[2:3]|
                                        ; implicit-def: $vgpr9
                                        ; implicit-def: $vgpr4_vgpr5
                                        ; implicit-def: $vgpr6_vgpr7
	s_and_saveexec_b32 s14, s0
	s_xor_b32 s0, exec_lo, s14
	s_cbranch_execz .LBB6_1341
; %bb.1340:
	v_ldexp_f64 v[4:5], |v[2:3]|, 0xffffff80
	v_cmp_le_f64_e64 vcc_lo, 0x7b000000, |v[2:3]|
	v_trig_preop_f64 v[6:7], |v[2:3]|, 0
	v_and_b32_e32 v9, 0x7fffffff, v3
	v_trig_preop_f64 v[21:22], |v[2:3]|, 2
	v_mov_b32_e32 v29, 0
	s_mov_b32 s14, 0x54442d18
	s_mov_b32 s15, 0x3ff921fb
	;; [unrolled: 1-line block ×4, first 2 shown]
	v_cndmask_b32_e32 v5, v9, v5, vcc_lo
	v_cndmask_b32_e32 v4, v2, v4, vcc_lo
	v_trig_preop_f64 v[9:10], |v[2:3]|, 1
	v_mul_f64 v[11:12], v[6:7], v[4:5]
	v_mul_f64 v[27:28], v[21:22], v[4:5]
	;; [unrolled: 1-line block ×3, first 2 shown]
	v_fma_f64 v[6:7], v[6:7], v[4:5], -v[11:12]
	v_fma_f64 v[9:10], v[9:10], v[4:5], -v[15:16]
	;; [unrolled: 1-line block ×3, first 2 shown]
	v_add_f64 v[17:18], v[15:16], v[6:7]
	v_add_f64 v[19:20], v[17:18], -v[15:16]
	v_add_f64 v[25:26], v[11:12], v[17:18]
	v_add_f64 v[23:24], v[17:18], -v[19:20]
	v_add_f64 v[6:7], v[6:7], -v[19:20]
	v_ldexp_f64 v[19:20], v[25:26], -2
	v_add_f64 v[11:12], v[25:26], -v[11:12]
	v_add_f64 v[15:16], v[15:16], -v[23:24]
	v_add_f64 v[23:24], v[27:28], v[9:10]
	v_cmp_neq_f64_e64 vcc_lo, 0x7ff00000, |v[19:20]|
	v_add_f64 v[11:12], v[17:18], -v[11:12]
	v_add_f64 v[6:7], v[6:7], v[15:16]
	v_fract_f64_e32 v[15:16], v[19:20]
	v_add_f64 v[17:18], v[23:24], v[6:7]
	v_ldexp_f64 v[15:16], v[15:16], 2
	v_add_f64 v[19:20], v[11:12], v[17:18]
	v_cndmask_b32_e32 v16, 0, v16, vcc_lo
	v_cndmask_b32_e32 v15, 0, v15, vcc_lo
	v_add_f64 v[25:26], v[19:20], v[15:16]
	v_add_f64 v[11:12], v[19:20], -v[11:12]
	v_cmp_gt_f64_e32 vcc_lo, 0, v[25:26]
	v_add_f64 v[25:26], v[23:24], -v[27:28]
	v_cndmask_b32_e64 v30, 0, 0x40100000, vcc_lo
	v_add_f64 v[34:35], v[23:24], -v[25:26]
	v_add_f64 v[9:10], v[9:10], -v[25:26]
	v_add_f64 v[15:16], v[15:16], v[29:30]
	v_add_f64 v[30:31], v[17:18], -v[23:24]
	v_add_f64 v[25:26], v[27:28], -v[34:35]
	v_add_f64 v[32:33], v[19:20], v[15:16]
	;; [unrolled: 3-line block ×3, first 2 shown]
	v_cvt_i32_f64_e32 v13, v[32:33]
	v_add_f64 v[23:24], v[23:24], -v[36:37]
	v_cvt_f64_i32_e32 v[30:31], v13
	v_add_f64 v[6:7], v[6:7], v[23:24]
	v_add_f64 v[15:16], v[15:16], -v[30:31]
	v_add_f64 v[6:7], v[9:10], v[6:7]
	v_add_f64 v[9:10], v[17:18], -v[11:12]
	v_add_f64 v[21:22], v[19:20], v[15:16]
	v_add_f64 v[4:5], v[4:5], v[6:7]
	v_add_f64 v[6:7], v[21:22], -v[15:16]
	v_cmp_le_f64_e32 vcc_lo, 0.5, v[21:22]
	v_add_f64 v[4:5], v[9:10], v[4:5]
	v_add_f64 v[6:7], v[19:20], -v[6:7]
	v_cndmask_b32_e64 v30, 0, 0x3ff00000, vcc_lo
	v_add_co_ci_u32_e64 v9, null, 0, v13, vcc_lo
	v_add_f64 v[4:5], v[4:5], v[6:7]
	v_add_f64 v[6:7], v[21:22], -v[29:30]
	v_add_f64 v[10:11], v[6:7], v[4:5]
	v_mul_f64 v[12:13], v[10:11], s[14:15]
	v_add_f64 v[6:7], v[10:11], -v[6:7]
	v_fma_f64 v[15:16], v[10:11], s[14:15], -v[12:13]
	v_add_f64 v[4:5], v[4:5], -v[6:7]
	v_fma_f64 v[6:7], v[10:11], s[16:17], v[15:16]
	v_fma_f64 v[6:7], v[4:5], s[14:15], v[6:7]
	v_add_f64 v[4:5], v[12:13], v[6:7]
	v_add_f64 v[10:11], v[4:5], -v[12:13]
	v_add_f64 v[6:7], v[6:7], -v[10:11]
.LBB6_1341:
	s_andn2_saveexec_b32 s0, s0
	s_cbranch_execz .LBB6_1343
; %bb.1342:
	s_mov_b32 s14, 0x6dc9c883
	s_mov_b32 s15, 0x3fe45f30
	;; [unrolled: 1-line block ×3, first 2 shown]
	v_mul_f64 v[4:5], |v[2:3]|, s[14:15]
	s_mov_b32 s14, 0x54442d18
	s_mov_b32 s15, 0xbff921fb
	s_mov_b32 s16, 0x33145c00
	v_rndne_f64_e32 v[9:10], v[4:5]
	v_fma_f64 v[4:5], v[9:10], s[14:15], |v[2:3]|
	v_mul_f64 v[6:7], v[9:10], s[16:17]
	s_mov_b32 s14, 0x252049c0
	s_mov_b32 s15, 0xb97b839a
	v_fma_f64 v[15:16], v[9:10], s[16:17], v[4:5]
	v_add_f64 v[11:12], v[4:5], v[6:7]
	s_mov_b32 s17, 0x3c91a626
	v_add_f64 v[4:5], v[4:5], -v[11:12]
	v_add_f64 v[11:12], v[11:12], -v[15:16]
	v_add_f64 v[4:5], v[4:5], v[6:7]
	v_fma_f64 v[6:7], v[9:10], s[16:17], v[6:7]
	v_add_f64 v[4:5], v[11:12], v[4:5]
	v_add_f64 v[4:5], v[4:5], -v[6:7]
	v_fma_f64 v[6:7], v[9:10], s[14:15], v[4:5]
	v_cvt_i32_f64_e32 v9, v[9:10]
	v_add_f64 v[4:5], v[15:16], v[6:7]
	v_add_f64 v[11:12], v[4:5], -v[15:16]
	v_add_f64 v[6:7], v[6:7], -v[11:12]
.LBB6_1343:
	s_or_b32 exec_lo, exec_lo, s0
	v_mul_f64 v[10:11], v[4:5], v[4:5]
	s_mov_b32 s14, 0xb42fdfa7
	s_mov_b32 s16, 0xf9a43bb8
	;; [unrolled: 1-line block ×6, first 2 shown]
	v_mul_f64 v[21:22], v[6:7], 0.5
	v_cmp_class_f64_e64 s0, v[2:3], 0x1f8
	v_fma_f64 v[12:13], v[10:11], s[16:17], s[14:15]
	s_mov_b32 s14, 0x9037ab78
	s_mov_b32 s16, 0x46cc5e42
	;; [unrolled: 1-line block ×4, first 2 shown]
	v_mul_f64 v[17:18], v[10:11], 0.5
	v_fma_f64 v[15:16], v[10:11], s[16:17], s[14:15]
	s_mov_b32 s14, 0xa17f65f6
	s_mov_b32 s16, 0x19e83e5c
	s_mov_b32 s15, 0xbe927e4f
	s_mov_b32 s17, 0xbf2a01a0
	v_mul_f64 v[23:24], v[4:5], -v[10:11]
	v_fma_f64 v[12:13], v[10:11], v[12:13], s[18:19]
	v_add_f64 v[19:20], -v[17:18], 1.0
	v_fma_f64 v[15:16], v[10:11], v[15:16], s[14:15]
	s_mov_b32 s14, 0x19f4ec90
	s_mov_b32 s15, 0x3efa01a0
	v_fma_f64 v[12:13], v[10:11], v[12:13], s[16:17]
	s_mov_b32 s16, 0x11110bb3
	s_mov_b32 s17, 0x3f811111
	v_add_f64 v[25:26], -v[19:20], 1.0
	v_fma_f64 v[15:16], v[10:11], v[15:16], s[14:15]
	s_mov_b32 s14, 0x16c16967
	s_mov_b32 s15, 0xbf56c16c
	v_fma_f64 v[12:13], v[10:11], v[12:13], s[16:17]
	v_add_f64 v[17:18], v[25:26], -v[17:18]
	v_fma_f64 v[15:16], v[10:11], v[15:16], s[14:15]
	s_mov_b32 s15, 0x3fa55555
	s_mov_b32 s14, 0x55555555
	v_fma_f64 v[12:13], v[23:24], v[12:13], v[21:22]
	v_mul_f64 v[21:22], v[10:11], v[10:11]
	v_fma_f64 v[17:18], v[4:5], -v[6:7], v[17:18]
	v_fma_f64 v[15:16], v[10:11], v[15:16], s[14:15]
	s_mov_b32 s15, 0xbfc55555
	v_fma_f64 v[6:7], v[10:11], v[12:13], -v[6:7]
	v_fma_f64 v[10:11], v[21:22], v[15:16], v[17:18]
	v_fma_f64 v[6:7], v[23:24], s[14:15], v[6:7]
	v_add_f64 v[10:11], v[19:20], v[10:11]
	v_add_f64 v[4:5], v[4:5], -v[6:7]
	v_and_b32_e32 v6, 1, v9
	v_cmp_eq_u32_e32 vcc_lo, 0, v6
	v_lshlrev_b32_e32 v6, 30, v9
	v_xor_b32_e32 v6, v6, v3
	v_and_b32_e32 v6, 0x80000000, v6
	v_cndmask_b32_e32 v5, v11, v5, vcc_lo
	v_cndmask_b32_e32 v4, v10, v4, vcc_lo
	v_xor_b32_e32 v5, v5, v6
	v_cndmask_b32_e64 v4, 0, v4, s0
	v_cndmask_b32_e64 v5, 0x7ff80000, v5, s0
	v_div_scale_f64 v[6:7], null, v[2:3], v[2:3], v[4:5]
	v_rcp_f64_e32 v[9:10], v[6:7]
	v_fma_f64 v[11:12], -v[6:7], v[9:10], 1.0
	v_fma_f64 v[9:10], v[9:10], v[11:12], v[9:10]
	v_fma_f64 v[11:12], -v[6:7], v[9:10], 1.0
	v_fma_f64 v[9:10], v[9:10], v[11:12], v[9:10]
	v_div_scale_f64 v[11:12], vcc_lo, v[4:5], v[2:3], v[4:5]
	v_mul_f64 v[15:16], v[11:12], v[9:10]
	v_fma_f64 v[6:7], -v[6:7], v[15:16], v[11:12]
	v_div_fmas_f64 v[6:7], v[6:7], v[9:10], v[15:16]
	v_div_fixup_f64 v[4:5], v[6:7], v[2:3], v[4:5]
                                        ; implicit-def: $vgpr2_vgpr3
.LBB6_1344:
	s_andn2_saveexec_b32 s0, s13
	s_cbranch_execz .LBB6_1346
; %bb.1345:
	v_mul_f64 v[2:3], v[2:3], v[2:3]
	s_mov_b32 s14, 0x67f544e4
	s_mov_b32 s16, 0x13a86d09
	;; [unrolled: 1-line block ×4, first 2 shown]
	v_fma_f64 v[4:5], v[2:3], s[16:17], s[14:15]
	s_mov_b32 s14, 0xa556c734
	s_mov_b32 s15, 0x3ec71de3
	v_fma_f64 v[4:5], v[2:3], v[4:5], s[14:15]
	s_mov_b32 s14, 0x1a01a01a
	s_mov_b32 s15, 0xbf2a01a0
	;; [unrolled: 3-line block ×4, first 2 shown]
	v_fma_f64 v[4:5], v[2:3], v[4:5], s[14:15]
	v_fma_f64 v[4:5], v[2:3], v[4:5], 1.0
.LBB6_1346:
	s_or_b32 exec_lo, exec_lo, s0
.LBB6_1347:
	s_or_b32 exec_lo, exec_lo, s12
	v_add_nc_u32_e32 v10, s3, v8
	s_cmp_lt_i32 s5, 11
	v_ashrrev_i32_e32 v2, 31, v10
	v_add_co_u32 v6, vcc_lo, s10, v10
	v_add_co_ci_u32_e64 v7, null, s11, v2, vcc_lo
	s_cbranch_scc1 .LBB6_1354
; %bb.1348:
	s_cmp_gt_i32 s5, 25
	s_mov_b32 s12, 0
	s_cbranch_scc0 .LBB6_1356
; %bb.1349:
	s_cmp_gt_i32 s5, 28
	s_cbranch_scc0 .LBB6_1357
; %bb.1350:
	s_cmp_gt_i32 s5, 43
	;; [unrolled: 3-line block ×3, first 2 shown]
	s_cbranch_scc0 .LBB6_1360
; %bb.1352:
	s_cmp_eq_u32 s5, 46
	s_mov_b32 s14, 0
	s_cbranch_scc0 .LBB6_1361
; %bb.1353:
	global_load_dword v2, v[6:7], off
	s_mov_b32 s0, 0
	s_mov_b32 s13, -1
	s_waitcnt vmcnt(0)
	v_lshlrev_b32_e32 v2, 16, v2
	v_cvt_f64_f32_e32 v[2:3], v2
	s_branch .LBB6_1363
.LBB6_1354:
	s_mov_b32 s13, 0
                                        ; implicit-def: $vgpr2_vgpr3
	s_cbranch_execnz .LBB6_1429
.LBB6_1355:
	s_andn2_b32 vcc_lo, exec_lo, s13
	s_cbranch_vccnz .LBB6_1706
	s_branch .LBB6_1477
.LBB6_1356:
	s_mov_b32 s14, -1
	s_mov_b32 s13, 0
	s_mov_b32 s0, 0
                                        ; implicit-def: $vgpr2_vgpr3
	s_branch .LBB6_1394
.LBB6_1357:
	s_mov_b32 s14, -1
	s_mov_b32 s13, 0
	s_mov_b32 s0, 0
                                        ; implicit-def: $vgpr2_vgpr3
	s_branch .LBB6_1373
.LBB6_1358:
	s_mov_b32 s14, -1
	s_mov_b32 s13, 0
	s_mov_b32 s0, 0
                                        ; implicit-def: $vgpr2_vgpr3
	s_branch .LBB6_1368
.LBB6_1359:
	s_or_b32 s4, s4, exec_lo
	s_trap 2
	s_cbranch_execz .LBB6_1288
	s_branch .LBB6_1289
.LBB6_1360:
	s_mov_b32 s14, -1
	s_mov_b32 s13, 0
	s_mov_b32 s0, 0
	s_branch .LBB6_1362
.LBB6_1361:
	s_mov_b32 s0, -1
	s_mov_b32 s13, 0
.LBB6_1362:
                                        ; implicit-def: $vgpr2_vgpr3
.LBB6_1363:
	s_and_b32 vcc_lo, exec_lo, s14
	s_cbranch_vccz .LBB6_1367
; %bb.1364:
	s_cmp_eq_u32 s5, 44
	s_cbranch_scc0 .LBB6_1366
; %bb.1365:
	global_load_ubyte v8, v[6:7], off
	s_mov_b32 s0, 0
	s_mov_b32 s13, -1
	s_waitcnt vmcnt(0)
	v_lshlrev_b32_e32 v2, 23, v8
	v_cmp_ne_u32_e32 vcc_lo, 0xff, v8
	v_cvt_f64_f32_e32 v[2:3], v2
	v_cndmask_b32_e32 v2, 0x20000000, v2, vcc_lo
	v_cndmask_b32_e32 v3, 0x7ff80000, v3, vcc_lo
	v_cmp_ne_u32_e32 vcc_lo, 0, v8
	v_cndmask_b32_e32 v3, 0x38000000, v3, vcc_lo
	v_cndmask_b32_e32 v2, 0, v2, vcc_lo
	s_branch .LBB6_1367
.LBB6_1366:
	s_mov_b32 s0, -1
                                        ; implicit-def: $vgpr2_vgpr3
.LBB6_1367:
	s_mov_b32 s14, 0
.LBB6_1368:
	s_and_b32 vcc_lo, exec_lo, s14
	s_cbranch_vccz .LBB6_1372
; %bb.1369:
	s_cmp_eq_u32 s5, 29
	s_cbranch_scc0 .LBB6_1371
; %bb.1370:
	global_load_dwordx2 v[2:3], v[6:7], off
	s_mov_b32 s0, 0
	s_mov_b32 s13, -1
	s_mov_b32 s14, 0
	s_waitcnt vmcnt(0)
	v_cvt_f64_u32_e32 v[8:9], v3
	v_cvt_f64_u32_e32 v[2:3], v2
	v_ldexp_f64 v[8:9], v[8:9], 32
	v_add_f64 v[2:3], v[8:9], v[2:3]
	s_branch .LBB6_1373
.LBB6_1371:
	s_mov_b32 s0, -1
                                        ; implicit-def: $vgpr2_vgpr3
.LBB6_1372:
	s_mov_b32 s14, 0
.LBB6_1373:
	s_and_b32 vcc_lo, exec_lo, s14
	s_cbranch_vccz .LBB6_1393
; %bb.1374:
	s_cmp_lt_i32 s5, 27
	s_cbranch_scc1 .LBB6_1377
; %bb.1375:
	s_cmp_gt_i32 s5, 27
	s_cbranch_scc0 .LBB6_1378
; %bb.1376:
	global_load_dword v2, v[6:7], off
	s_mov_b32 s13, 0
	s_waitcnt vmcnt(0)
	v_cvt_f64_u32_e32 v[2:3], v2
	s_branch .LBB6_1379
.LBB6_1377:
	s_mov_b32 s13, -1
                                        ; implicit-def: $vgpr2_vgpr3
	s_branch .LBB6_1382
.LBB6_1378:
	s_mov_b32 s13, -1
                                        ; implicit-def: $vgpr2_vgpr3
.LBB6_1379:
	s_andn2_b32 vcc_lo, exec_lo, s13
	s_cbranch_vccnz .LBB6_1381
; %bb.1380:
	global_load_ushort v2, v[6:7], off
	s_waitcnt vmcnt(0)
	v_cvt_f64_u32_e32 v[2:3], v2
.LBB6_1381:
	s_mov_b32 s13, 0
.LBB6_1382:
	s_andn2_b32 vcc_lo, exec_lo, s13
	s_cbranch_vccnz .LBB6_1392
; %bb.1383:
	global_load_ubyte v8, v[6:7], off
	s_mov_b32 s13, 0
	s_mov_b32 s14, exec_lo
	s_waitcnt vmcnt(0)
	v_cmpx_lt_i16_e32 0x7f, v8
	s_xor_b32 s14, exec_lo, s14
	s_cbranch_execz .LBB6_1387
; %bb.1384:
	s_mov_b32 s13, -1
	s_mov_b32 s15, exec_lo
	v_cmpx_eq_u16_e32 0x80, v8
; %bb.1385:
	s_xor_b32 s13, exec_lo, -1
; %bb.1386:
	s_or_b32 exec_lo, exec_lo, s15
	s_and_b32 s13, s13, exec_lo
.LBB6_1387:
	s_or_saveexec_b32 s14, s14
	v_bfrev_b32_e32 v2, 4
	v_mov_b32_e32 v3, 0x7ff80000
	s_xor_b32 exec_lo, exec_lo, s14
; %bb.1388:
	v_cmp_ne_u16_e32 vcc_lo, 0, v8
	v_mov_b32_e32 v2, 0
	v_mov_b32_e32 v3, 0
	s_andn2_b32 s13, s13, exec_lo
	s_and_b32 s15, vcc_lo, exec_lo
	s_or_b32 s13, s13, s15
; %bb.1389:
	s_or_b32 exec_lo, exec_lo, s14
	s_and_saveexec_b32 s14, s13
	s_cbranch_execz .LBB6_1391
; %bb.1390:
	v_and_b32_e32 v2, 0xffff, v8
	v_lshlrev_b32_e32 v8, 24, v8
	v_and_b32_e32 v3, 7, v2
	v_bfe_u32 v12, v2, 3, 4
	v_ffbh_u32_e32 v9, v3
	v_cmp_eq_u32_e32 vcc_lo, 0, v12
	v_min_u32_e32 v9, 32, v9
	v_subrev_nc_u32_e32 v11, 28, v9
	v_sub_nc_u32_e32 v9, 29, v9
	v_lshlrev_b32_e32 v2, v11, v2
	v_cndmask_b32_e32 v9, v12, v9, vcc_lo
	v_and_b32_e32 v2, 7, v2
	v_cndmask_b32_e32 v2, v3, v2, vcc_lo
	v_and_b32_e32 v3, 0x80000000, v8
	v_lshl_add_u32 v8, v9, 23, 0x3b800000
	v_lshlrev_b32_e32 v2, 20, v2
	v_or3_b32 v2, v3, v8, v2
	v_cvt_f64_f32_e32 v[2:3], v2
.LBB6_1391:
	s_or_b32 exec_lo, exec_lo, s14
.LBB6_1392:
	s_mov_b32 s13, -1
.LBB6_1393:
	s_mov_b32 s14, 0
.LBB6_1394:
	s_and_b32 vcc_lo, exec_lo, s14
	s_cbranch_vccz .LBB6_1425
; %bb.1395:
	s_cmp_gt_i32 s5, 22
	s_cbranch_scc0 .LBB6_1407
; %bb.1396:
	s_cmp_lt_i32 s5, 24
	s_cbranch_scc1 .LBB6_1408
; %bb.1397:
	s_cmp_gt_i32 s5, 24
	s_cbranch_scc0 .LBB6_1409
; %bb.1398:
	global_load_ubyte v8, v[6:7], off
	s_mov_b32 s13, exec_lo
	s_waitcnt vmcnt(0)
	v_cmpx_lt_i16_e32 0x7f, v8
	s_xor_b32 s13, exec_lo, s13
	s_cbranch_execz .LBB6_1402
; %bb.1399:
	s_mov_b32 s12, -1
	s_mov_b32 s14, exec_lo
	v_cmpx_eq_u16_e32 0x80, v8
; %bb.1400:
	s_xor_b32 s12, exec_lo, -1
; %bb.1401:
	s_or_b32 exec_lo, exec_lo, s14
	s_and_b32 s12, s12, exec_lo
.LBB6_1402:
	s_or_saveexec_b32 s13, s13
	v_bfrev_b32_e32 v2, 4
	v_mov_b32_e32 v3, 0x7ff80000
	s_xor_b32 exec_lo, exec_lo, s13
; %bb.1403:
	v_cmp_ne_u16_e32 vcc_lo, 0, v8
	v_mov_b32_e32 v2, 0
	v_mov_b32_e32 v3, 0
	s_andn2_b32 s12, s12, exec_lo
	s_and_b32 s14, vcc_lo, exec_lo
	s_or_b32 s12, s12, s14
; %bb.1404:
	s_or_b32 exec_lo, exec_lo, s13
	s_and_saveexec_b32 s13, s12
	s_cbranch_execz .LBB6_1406
; %bb.1405:
	v_and_b32_e32 v2, 0xffff, v8
	v_lshlrev_b32_e32 v8, 24, v8
	v_and_b32_e32 v3, 3, v2
	v_bfe_u32 v12, v2, 2, 5
	v_ffbh_u32_e32 v9, v3
	v_cmp_eq_u32_e32 vcc_lo, 0, v12
	v_min_u32_e32 v9, 32, v9
	v_subrev_nc_u32_e32 v11, 29, v9
	v_sub_nc_u32_e32 v9, 30, v9
	v_lshlrev_b32_e32 v2, v11, v2
	v_cndmask_b32_e32 v9, v12, v9, vcc_lo
	v_and_b32_e32 v2, 3, v2
	v_cndmask_b32_e32 v2, v3, v2, vcc_lo
	v_and_b32_e32 v3, 0x80000000, v8
	v_lshl_add_u32 v8, v9, 23, 0x37800000
	v_lshlrev_b32_e32 v2, 21, v2
	v_or3_b32 v2, v3, v8, v2
	v_cvt_f64_f32_e32 v[2:3], v2
.LBB6_1406:
	s_or_b32 exec_lo, exec_lo, s13
	s_mov_b32 s12, 0
	s_branch .LBB6_1410
.LBB6_1407:
	s_mov_b32 s12, -1
                                        ; implicit-def: $vgpr2_vgpr3
	s_branch .LBB6_1416
.LBB6_1408:
	s_mov_b32 s12, -1
                                        ; implicit-def: $vgpr2_vgpr3
	s_branch .LBB6_1413
.LBB6_1409:
	s_mov_b32 s12, -1
                                        ; implicit-def: $vgpr2_vgpr3
.LBB6_1410:
	s_and_b32 vcc_lo, exec_lo, s12
	s_cbranch_vccz .LBB6_1412
; %bb.1411:
	global_load_ubyte v2, v[6:7], off
	s_waitcnt vmcnt(0)
	v_lshlrev_b32_e32 v2, 24, v2
	v_and_b32_e32 v3, 0x7f000000, v2
	v_ffbh_u32_e32 v8, v3
	v_add_nc_u32_e32 v11, 0x1000000, v3
	v_cmp_ne_u32_e32 vcc_lo, 0, v3
	v_min_u32_e32 v8, 32, v8
	v_sub_nc_u32_e64 v8, v8, 4 clamp
	v_lshlrev_b32_e32 v9, v8, v3
	v_lshlrev_b32_e32 v8, 23, v8
	v_lshrrev_b32_e32 v9, 4, v9
	v_sub_nc_u32_e32 v8, v9, v8
	v_ashrrev_i32_e32 v9, 8, v11
	v_add_nc_u32_e32 v8, 0x3c000000, v8
	v_and_or_b32 v8, 0x7f800000, v9, v8
	v_cndmask_b32_e32 v3, 0, v8, vcc_lo
	v_and_or_b32 v2, 0x80000000, v2, v3
	v_cvt_f64_f32_e32 v[2:3], v2
.LBB6_1412:
	s_mov_b32 s12, 0
.LBB6_1413:
	s_andn2_b32 vcc_lo, exec_lo, s12
	s_cbranch_vccnz .LBB6_1415
; %bb.1414:
	global_load_ubyte v2, v[6:7], off
	s_waitcnt vmcnt(0)
	v_lshlrev_b32_e32 v3, 25, v2
	v_lshlrev_b16 v2, 8, v2
	v_lshrrev_b32_e32 v8, 4, v3
	v_and_or_b32 v9, 0x7f00, v2, 0.5
	v_cmp_gt_u32_e32 vcc_lo, 0x8000000, v3
	v_bfe_i32 v2, v2, 0, 16
	v_or_b32_e32 v8, 0x70000000, v8
	v_add_f32_e32 v9, -0.5, v9
	v_mul_f32_e32 v8, 0x7800000, v8
	v_cndmask_b32_e32 v3, v8, v9, vcc_lo
	v_and_or_b32 v2, 0x80000000, v2, v3
	v_cvt_f64_f32_e32 v[2:3], v2
.LBB6_1415:
	s_mov_b32 s12, 0
	s_mov_b32 s13, -1
.LBB6_1416:
	s_andn2_b32 vcc_lo, exec_lo, s12
	s_mov_b32 s12, 0
	s_cbranch_vccnz .LBB6_1425
; %bb.1417:
	s_cmp_gt_i32 s5, 14
	s_cbranch_scc0 .LBB6_1420
; %bb.1418:
	s_cmp_eq_u32 s5, 15
	s_cbranch_scc0 .LBB6_1421
; %bb.1419:
	global_load_ushort v2, v[6:7], off
	s_mov_b32 s0, 0
	s_mov_b32 s13, -1
	s_waitcnt vmcnt(0)
	v_lshlrev_b32_e32 v2, 16, v2
	v_cvt_f64_f32_e32 v[2:3], v2
	s_branch .LBB6_1423
.LBB6_1420:
	s_mov_b32 s12, -1
	s_branch .LBB6_1422
.LBB6_1421:
	s_mov_b32 s0, -1
.LBB6_1422:
                                        ; implicit-def: $vgpr2_vgpr3
.LBB6_1423:
	s_and_b32 vcc_lo, exec_lo, s12
	s_mov_b32 s12, 0
	s_cbranch_vccz .LBB6_1425
; %bb.1424:
	s_cmp_lg_u32 s5, 11
	s_mov_b32 s12, -1
	s_cselect_b32 s0, -1, 0
.LBB6_1425:
	s_and_b32 vcc_lo, exec_lo, s0
	s_cbranch_vccnz .LBB6_1498
; %bb.1426:
	s_andn2_b32 vcc_lo, exec_lo, s12
	s_cbranch_vccnz .LBB6_1428
.LBB6_1427:
	global_load_ubyte v2, v[6:7], off
	s_mov_b32 s13, -1
	s_waitcnt vmcnt(0)
	v_cmp_ne_u16_e32 vcc_lo, 0, v2
	v_mov_b32_e32 v2, 0
	v_cndmask_b32_e64 v3, 0, 0x3ff00000, vcc_lo
.LBB6_1428:
	s_branch .LBB6_1355
.LBB6_1429:
	s_cmp_lt_i32 s5, 5
	s_cbranch_scc1 .LBB6_1434
; %bb.1430:
	s_cmp_lt_i32 s5, 8
	s_cbranch_scc1 .LBB6_1435
; %bb.1431:
	;; [unrolled: 3-line block ×3, first 2 shown]
	s_cmp_gt_i32 s5, 9
	s_cbranch_scc0 .LBB6_1437
; %bb.1433:
	global_load_dwordx2 v[2:3], v[6:7], off
	s_mov_b32 s0, 0
	s_branch .LBB6_1438
.LBB6_1434:
	s_mov_b32 s0, -1
                                        ; implicit-def: $vgpr2_vgpr3
	s_branch .LBB6_1456
.LBB6_1435:
	s_mov_b32 s0, -1
                                        ; implicit-def: $vgpr2_vgpr3
	s_branch .LBB6_1444
.LBB6_1436:
	s_mov_b32 s0, -1
                                        ; implicit-def: $vgpr2_vgpr3
	s_branch .LBB6_1441
.LBB6_1437:
	s_mov_b32 s0, -1
                                        ; implicit-def: $vgpr2_vgpr3
.LBB6_1438:
	s_andn2_b32 vcc_lo, exec_lo, s0
	s_cbranch_vccnz .LBB6_1440
; %bb.1439:
	global_load_dword v2, v[6:7], off
	s_waitcnt vmcnt(0)
	v_cvt_f64_f32_e32 v[2:3], v2
.LBB6_1440:
	s_mov_b32 s0, 0
.LBB6_1441:
	s_andn2_b32 vcc_lo, exec_lo, s0
	s_cbranch_vccnz .LBB6_1443
; %bb.1442:
	global_load_dword v2, v[6:7], off
	s_waitcnt vmcnt(0)
	v_cvt_f32_f16_e32 v2, v2
	v_cvt_f64_f32_e32 v[2:3], v2
.LBB6_1443:
	s_mov_b32 s0, 0
.LBB6_1444:
	s_andn2_b32 vcc_lo, exec_lo, s0
	s_cbranch_vccnz .LBB6_1455
; %bb.1445:
	s_cmp_lt_i32 s5, 6
	s_cbranch_scc1 .LBB6_1448
; %bb.1446:
	s_cmp_gt_i32 s5, 6
	s_cbranch_scc0 .LBB6_1449
; %bb.1447:
	global_load_dwordx2 v[2:3], v[6:7], off
	s_mov_b32 s0, 0
	s_branch .LBB6_1450
.LBB6_1448:
	s_mov_b32 s0, -1
                                        ; implicit-def: $vgpr2_vgpr3
	s_branch .LBB6_1453
.LBB6_1449:
	s_mov_b32 s0, -1
                                        ; implicit-def: $vgpr2_vgpr3
.LBB6_1450:
	s_andn2_b32 vcc_lo, exec_lo, s0
	s_cbranch_vccnz .LBB6_1452
; %bb.1451:
	global_load_dword v2, v[6:7], off
	s_waitcnt vmcnt(0)
	v_cvt_f64_f32_e32 v[2:3], v2
.LBB6_1452:
	s_mov_b32 s0, 0
.LBB6_1453:
	s_andn2_b32 vcc_lo, exec_lo, s0
	s_cbranch_vccnz .LBB6_1455
; %bb.1454:
	global_load_ushort v2, v[6:7], off
	s_waitcnt vmcnt(0)
	v_cvt_f32_f16_e32 v2, v2
	v_cvt_f64_f32_e32 v[2:3], v2
.LBB6_1455:
	s_mov_b32 s0, 0
.LBB6_1456:
	s_andn2_b32 vcc_lo, exec_lo, s0
	s_cbranch_vccnz .LBB6_1476
; %bb.1457:
	s_cmp_lt_i32 s5, 2
	s_cbranch_scc1 .LBB6_1461
; %bb.1458:
	s_cmp_lt_i32 s5, 3
	s_cbranch_scc1 .LBB6_1462
; %bb.1459:
	s_cmp_gt_i32 s5, 3
	s_cbranch_scc0 .LBB6_1463
; %bb.1460:
	global_load_dwordx2 v[2:3], v[6:7], off
	s_mov_b32 s0, 0
	s_waitcnt vmcnt(0)
	v_cvt_f64_i32_e32 v[8:9], v3
	v_cvt_f64_u32_e32 v[2:3], v2
	v_ldexp_f64 v[8:9], v[8:9], 32
	v_add_f64 v[2:3], v[8:9], v[2:3]
	s_branch .LBB6_1464
.LBB6_1461:
	s_mov_b32 s0, -1
                                        ; implicit-def: $vgpr2_vgpr3
	s_branch .LBB6_1470
.LBB6_1462:
	s_mov_b32 s0, -1
                                        ; implicit-def: $vgpr2_vgpr3
	s_branch .LBB6_1467
.LBB6_1463:
	s_mov_b32 s0, -1
                                        ; implicit-def: $vgpr2_vgpr3
.LBB6_1464:
	s_andn2_b32 vcc_lo, exec_lo, s0
	s_cbranch_vccnz .LBB6_1466
; %bb.1465:
	global_load_dword v2, v[6:7], off
	s_waitcnt vmcnt(0)
	v_cvt_f64_i32_e32 v[2:3], v2
.LBB6_1466:
	s_mov_b32 s0, 0
.LBB6_1467:
	s_andn2_b32 vcc_lo, exec_lo, s0
	s_cbranch_vccnz .LBB6_1469
; %bb.1468:
	global_load_sshort v2, v[6:7], off
	s_waitcnt vmcnt(0)
	v_cvt_f64_i32_e32 v[2:3], v2
.LBB6_1469:
	s_mov_b32 s0, 0
.LBB6_1470:
	s_andn2_b32 vcc_lo, exec_lo, s0
	s_cbranch_vccnz .LBB6_1476
; %bb.1471:
	s_cmp_gt_i32 s5, 0
	s_mov_b32 s0, 0
	s_cbranch_scc0 .LBB6_1473
; %bb.1472:
	global_load_sbyte v2, v[6:7], off
	s_waitcnt vmcnt(0)
	v_cvt_f64_i32_e32 v[2:3], v2
	s_branch .LBB6_1474
.LBB6_1473:
	s_mov_b32 s0, -1
                                        ; implicit-def: $vgpr2_vgpr3
.LBB6_1474:
	s_andn2_b32 vcc_lo, exec_lo, s0
	s_cbranch_vccnz .LBB6_1476
; %bb.1475:
	global_load_ubyte v2, v[6:7], off
	s_waitcnt vmcnt(0)
	v_cvt_f64_u32_e32 v[2:3], v2
.LBB6_1476:
.LBB6_1477:
	v_mov_b32_e32 v8, 0
	v_mov_b32_e32 v9, 0
	s_mov_b32 s12, exec_lo
	s_waitcnt vmcnt(0)
	v_cmpx_neq_f64_e64 0x7ff00000, |v[2:3]|
	s_cbranch_execz .LBB6_1487
; %bb.1478:
	s_mov_b32 s13, exec_lo
                                        ; implicit-def: $vgpr8_vgpr9
	v_cmpx_nlt_f64_e64 |v[2:3]|, 0.5
	s_xor_b32 s13, exec_lo, s13
	s_cbranch_execz .LBB6_1484
; %bb.1479:
	v_cmp_ngt_f64_e64 s0, 0x41d00000, |v[2:3]|
                                        ; implicit-def: $vgpr11
                                        ; implicit-def: $vgpr6_vgpr7
                                        ; implicit-def: $vgpr8_vgpr9
	s_and_saveexec_b32 s14, s0
	s_xor_b32 s0, exec_lo, s14
	s_cbranch_execz .LBB6_1481
; %bb.1480:
	v_ldexp_f64 v[6:7], |v[2:3]|, 0xffffff80
	v_cmp_le_f64_e64 vcc_lo, 0x7b000000, |v[2:3]|
	v_trig_preop_f64 v[8:9], |v[2:3]|, 0
	v_and_b32_e32 v11, 0x7fffffff, v3
	v_trig_preop_f64 v[23:24], |v[2:3]|, 2
	v_mov_b32_e32 v31, 0
	s_mov_b32 s14, 0x54442d18
	s_mov_b32 s15, 0x3ff921fb
	;; [unrolled: 1-line block ×4, first 2 shown]
	v_cndmask_b32_e32 v7, v11, v7, vcc_lo
	v_cndmask_b32_e32 v6, v2, v6, vcc_lo
	v_trig_preop_f64 v[11:12], |v[2:3]|, 1
	v_mul_f64 v[15:16], v[8:9], v[6:7]
	v_mul_f64 v[29:30], v[23:24], v[6:7]
	;; [unrolled: 1-line block ×3, first 2 shown]
	v_fma_f64 v[8:9], v[8:9], v[6:7], -v[15:16]
	v_fma_f64 v[11:12], v[11:12], v[6:7], -v[17:18]
	;; [unrolled: 1-line block ×3, first 2 shown]
	v_add_f64 v[19:20], v[17:18], v[8:9]
	v_add_f64 v[21:22], v[19:20], -v[17:18]
	v_add_f64 v[27:28], v[15:16], v[19:20]
	v_add_f64 v[25:26], v[19:20], -v[21:22]
	v_add_f64 v[8:9], v[8:9], -v[21:22]
	v_ldexp_f64 v[21:22], v[27:28], -2
	v_add_f64 v[15:16], v[27:28], -v[15:16]
	v_add_f64 v[17:18], v[17:18], -v[25:26]
	v_add_f64 v[25:26], v[29:30], v[11:12]
	v_cmp_neq_f64_e64 vcc_lo, 0x7ff00000, |v[21:22]|
	v_add_f64 v[15:16], v[19:20], -v[15:16]
	v_add_f64 v[8:9], v[8:9], v[17:18]
	v_fract_f64_e32 v[17:18], v[21:22]
	v_add_f64 v[19:20], v[25:26], v[8:9]
	v_ldexp_f64 v[17:18], v[17:18], 2
	v_add_f64 v[21:22], v[15:16], v[19:20]
	v_cndmask_b32_e32 v18, 0, v18, vcc_lo
	v_cndmask_b32_e32 v17, 0, v17, vcc_lo
	v_add_f64 v[27:28], v[21:22], v[17:18]
	v_add_f64 v[15:16], v[21:22], -v[15:16]
	v_cmp_gt_f64_e32 vcc_lo, 0, v[27:28]
	v_add_f64 v[27:28], v[25:26], -v[29:30]
	v_add_f64 v[15:16], v[19:20], -v[15:16]
	v_cndmask_b32_e64 v32, 0, 0x40100000, vcc_lo
	v_add_f64 v[36:37], v[25:26], -v[27:28]
	v_add_f64 v[11:12], v[11:12], -v[27:28]
	v_add_f64 v[17:18], v[17:18], v[31:32]
	v_add_f64 v[32:33], v[19:20], -v[25:26]
	v_add_f64 v[27:28], v[29:30], -v[36:37]
	v_add_f64 v[34:35], v[21:22], v[17:18]
	;; [unrolled: 3-line block ×3, first 2 shown]
	v_cvt_i32_f64_e32 v34, v[34:35]
	v_add_f64 v[25:26], v[25:26], -v[38:39]
	v_cvt_f64_i32_e32 v[32:33], v34
	v_add_f64 v[8:9], v[8:9], v[25:26]
	v_add_f64 v[17:18], v[17:18], -v[32:33]
	v_add_f64 v[8:9], v[11:12], v[8:9]
	v_add_f64 v[12:13], v[21:22], v[17:18]
	;; [unrolled: 1-line block ×3, first 2 shown]
	v_add_f64 v[8:9], v[12:13], -v[17:18]
	v_cmp_le_f64_e32 vcc_lo, 0.5, v[12:13]
	v_add_f64 v[6:7], v[15:16], v[6:7]
	v_add_f64 v[8:9], v[21:22], -v[8:9]
	v_cndmask_b32_e64 v32, 0, 0x3ff00000, vcc_lo
	v_add_co_ci_u32_e64 v11, null, 0, v34, vcc_lo
	v_add_f64 v[6:7], v[6:7], v[8:9]
	v_add_f64 v[8:9], v[12:13], -v[31:32]
	v_add_f64 v[12:13], v[8:9], v[6:7]
	v_mul_f64 v[15:16], v[12:13], s[14:15]
	v_add_f64 v[8:9], v[12:13], -v[8:9]
	v_fma_f64 v[17:18], v[12:13], s[14:15], -v[15:16]
	v_add_f64 v[6:7], v[6:7], -v[8:9]
	v_fma_f64 v[8:9], v[12:13], s[16:17], v[17:18]
	v_fma_f64 v[8:9], v[6:7], s[14:15], v[8:9]
	v_add_f64 v[6:7], v[15:16], v[8:9]
	v_add_f64 v[12:13], v[6:7], -v[15:16]
	v_add_f64 v[8:9], v[8:9], -v[12:13]
.LBB6_1481:
	s_andn2_saveexec_b32 s0, s0
	s_cbranch_execz .LBB6_1483
; %bb.1482:
	s_mov_b32 s14, 0x6dc9c883
	s_mov_b32 s15, 0x3fe45f30
	;; [unrolled: 1-line block ×3, first 2 shown]
	v_mul_f64 v[6:7], |v[2:3]|, s[14:15]
	s_mov_b32 s14, 0x54442d18
	s_mov_b32 s15, 0xbff921fb
	s_mov_b32 s16, 0x33145c00
	v_rndne_f64_e32 v[11:12], v[6:7]
	v_fma_f64 v[6:7], v[11:12], s[14:15], |v[2:3]|
	v_mul_f64 v[8:9], v[11:12], s[16:17]
	s_mov_b32 s14, 0x252049c0
	s_mov_b32 s15, 0xb97b839a
	v_fma_f64 v[17:18], v[11:12], s[16:17], v[6:7]
	v_add_f64 v[15:16], v[6:7], v[8:9]
	s_mov_b32 s17, 0x3c91a626
	v_add_f64 v[6:7], v[6:7], -v[15:16]
	v_add_f64 v[15:16], v[15:16], -v[17:18]
	v_add_f64 v[6:7], v[6:7], v[8:9]
	v_fma_f64 v[8:9], v[11:12], s[16:17], v[8:9]
	v_add_f64 v[6:7], v[15:16], v[6:7]
	v_add_f64 v[6:7], v[6:7], -v[8:9]
	v_fma_f64 v[8:9], v[11:12], s[14:15], v[6:7]
	v_cvt_i32_f64_e32 v11, v[11:12]
	v_add_f64 v[6:7], v[17:18], v[8:9]
	v_add_f64 v[15:16], v[6:7], -v[17:18]
	v_add_f64 v[8:9], v[8:9], -v[15:16]
.LBB6_1483:
	s_or_b32 exec_lo, exec_lo, s0
	v_mul_f64 v[12:13], v[6:7], v[6:7]
	s_mov_b32 s14, 0xb42fdfa7
	s_mov_b32 s16, 0xf9a43bb8
	;; [unrolled: 1-line block ×6, first 2 shown]
	v_mul_f64 v[23:24], v[8:9], 0.5
	v_cmp_class_f64_e64 s0, v[2:3], 0x1f8
	v_fma_f64 v[15:16], v[12:13], s[16:17], s[14:15]
	s_mov_b32 s14, 0x9037ab78
	s_mov_b32 s16, 0x46cc5e42
	;; [unrolled: 1-line block ×4, first 2 shown]
	v_mul_f64 v[19:20], v[12:13], 0.5
	v_fma_f64 v[17:18], v[12:13], s[16:17], s[14:15]
	s_mov_b32 s14, 0xa17f65f6
	s_mov_b32 s16, 0x19e83e5c
	;; [unrolled: 1-line block ×4, first 2 shown]
	v_mul_f64 v[25:26], v[6:7], -v[12:13]
	v_fma_f64 v[15:16], v[12:13], v[15:16], s[18:19]
	v_add_f64 v[21:22], -v[19:20], 1.0
	v_fma_f64 v[17:18], v[12:13], v[17:18], s[14:15]
	s_mov_b32 s14, 0x19f4ec90
	s_mov_b32 s15, 0x3efa01a0
	v_fma_f64 v[15:16], v[12:13], v[15:16], s[16:17]
	s_mov_b32 s16, 0x11110bb3
	s_mov_b32 s17, 0x3f811111
	v_add_f64 v[27:28], -v[21:22], 1.0
	v_fma_f64 v[17:18], v[12:13], v[17:18], s[14:15]
	s_mov_b32 s14, 0x16c16967
	s_mov_b32 s15, 0xbf56c16c
	v_fma_f64 v[15:16], v[12:13], v[15:16], s[16:17]
	v_add_f64 v[19:20], v[27:28], -v[19:20]
	v_fma_f64 v[17:18], v[12:13], v[17:18], s[14:15]
	s_mov_b32 s15, 0x3fa55555
	s_mov_b32 s14, 0x55555555
	v_fma_f64 v[15:16], v[25:26], v[15:16], v[23:24]
	v_mul_f64 v[23:24], v[12:13], v[12:13]
	v_fma_f64 v[19:20], v[6:7], -v[8:9], v[19:20]
	v_fma_f64 v[17:18], v[12:13], v[17:18], s[14:15]
	s_mov_b32 s15, 0xbfc55555
	v_fma_f64 v[8:9], v[12:13], v[15:16], -v[8:9]
	v_fma_f64 v[12:13], v[23:24], v[17:18], v[19:20]
	v_fma_f64 v[8:9], v[25:26], s[14:15], v[8:9]
	v_add_f64 v[12:13], v[21:22], v[12:13]
	v_add_f64 v[6:7], v[6:7], -v[8:9]
	v_and_b32_e32 v8, 1, v11
	v_cmp_eq_u32_e32 vcc_lo, 0, v8
	v_lshlrev_b32_e32 v8, 30, v11
	v_xor_b32_e32 v8, v8, v3
	v_and_b32_e32 v8, 0x80000000, v8
	v_cndmask_b32_e32 v7, v13, v7, vcc_lo
	v_cndmask_b32_e32 v6, v12, v6, vcc_lo
	v_xor_b32_e32 v7, v7, v8
	v_cndmask_b32_e64 v6, 0, v6, s0
	v_cndmask_b32_e64 v7, 0x7ff80000, v7, s0
	v_div_scale_f64 v[8:9], null, v[2:3], v[2:3], v[6:7]
	v_rcp_f64_e32 v[11:12], v[8:9]
	v_fma_f64 v[15:16], -v[8:9], v[11:12], 1.0
	v_fma_f64 v[11:12], v[11:12], v[15:16], v[11:12]
	v_fma_f64 v[15:16], -v[8:9], v[11:12], 1.0
	v_fma_f64 v[11:12], v[11:12], v[15:16], v[11:12]
	v_div_scale_f64 v[15:16], vcc_lo, v[6:7], v[2:3], v[6:7]
	v_mul_f64 v[17:18], v[15:16], v[11:12]
	v_fma_f64 v[8:9], -v[8:9], v[17:18], v[15:16]
	v_div_fmas_f64 v[8:9], v[8:9], v[11:12], v[17:18]
	v_div_fixup_f64 v[8:9], v[8:9], v[2:3], v[6:7]
                                        ; implicit-def: $vgpr2_vgpr3
.LBB6_1484:
	s_andn2_saveexec_b32 s0, s13
	s_cbranch_execz .LBB6_1486
; %bb.1485:
	v_mul_f64 v[2:3], v[2:3], v[2:3]
	s_mov_b32 s14, 0x67f544e4
	s_mov_b32 s16, 0x13a86d09
	;; [unrolled: 1-line block ×4, first 2 shown]
	v_fma_f64 v[6:7], v[2:3], s[16:17], s[14:15]
	s_mov_b32 s14, 0xa556c734
	s_mov_b32 s15, 0x3ec71de3
	v_fma_f64 v[6:7], v[2:3], v[6:7], s[14:15]
	s_mov_b32 s14, 0x1a01a01a
	s_mov_b32 s15, 0xbf2a01a0
	;; [unrolled: 3-line block ×4, first 2 shown]
	v_fma_f64 v[6:7], v[2:3], v[6:7], s[14:15]
	v_fma_f64 v[8:9], v[2:3], v[6:7], 1.0
.LBB6_1486:
	s_or_b32 exec_lo, exec_lo, s0
.LBB6_1487:
	s_or_b32 exec_lo, exec_lo, s12
	v_add_nc_u32_e32 v2, s3, v10
	s_cmp_lt_i32 s5, 11
	v_ashrrev_i32_e32 v3, 31, v2
	v_add_co_u32 v6, vcc_lo, s10, v2
	v_add_co_ci_u32_e64 v7, null, s11, v3, vcc_lo
	s_cbranch_scc1 .LBB6_1494
; %bb.1488:
	s_cmp_gt_i32 s5, 25
	s_mov_b32 s3, 0
	s_cbranch_scc0 .LBB6_1495
; %bb.1489:
	s_cmp_gt_i32 s5, 28
	s_cbranch_scc0 .LBB6_1496
; %bb.1490:
	s_cmp_gt_i32 s5, 43
	;; [unrolled: 3-line block ×3, first 2 shown]
	s_cbranch_scc0 .LBB6_1499
; %bb.1492:
	s_cmp_eq_u32 s5, 46
	s_mov_b32 s11, 0
	s_cbranch_scc0 .LBB6_1500
; %bb.1493:
	global_load_dword v2, v[6:7], off
	s_mov_b32 s0, 0
	s_mov_b32 s10, -1
	s_waitcnt vmcnt(0)
	v_lshlrev_b32_e32 v2, 16, v2
	v_cvt_f64_f32_e32 v[2:3], v2
	s_branch .LBB6_1502
.LBB6_1494:
	s_mov_b32 s0, -1
	s_mov_b32 s10, 0
                                        ; implicit-def: $vgpr2_vgpr3
	s_branch .LBB6_1568
.LBB6_1495:
	s_mov_b32 s11, -1
	s_mov_b32 s10, 0
	s_mov_b32 s0, 0
                                        ; implicit-def: $vgpr2_vgpr3
	s_branch .LBB6_1533
.LBB6_1496:
	s_mov_b32 s11, -1
	s_mov_b32 s10, 0
	s_mov_b32 s0, 0
                                        ; implicit-def: $vgpr2_vgpr3
	s_branch .LBB6_1512
.LBB6_1497:
	s_mov_b32 s11, -1
	s_mov_b32 s10, 0
	s_mov_b32 s0, 0
                                        ; implicit-def: $vgpr2_vgpr3
	s_branch .LBB6_1507
.LBB6_1498:
	s_or_b32 s4, s4, exec_lo
	s_trap 2
	s_cbranch_execz .LBB6_1427
	s_branch .LBB6_1428
.LBB6_1499:
	s_mov_b32 s11, -1
	s_mov_b32 s10, 0
	s_mov_b32 s0, 0
	s_branch .LBB6_1501
.LBB6_1500:
	s_mov_b32 s0, -1
	s_mov_b32 s10, 0
.LBB6_1501:
                                        ; implicit-def: $vgpr2_vgpr3
.LBB6_1502:
	s_and_b32 vcc_lo, exec_lo, s11
	s_cbranch_vccz .LBB6_1506
; %bb.1503:
	s_cmp_eq_u32 s5, 44
	s_cbranch_scc0 .LBB6_1505
; %bb.1504:
	global_load_ubyte v10, v[6:7], off
	s_mov_b32 s0, 0
	s_mov_b32 s10, -1
	s_waitcnt vmcnt(0)
	v_lshlrev_b32_e32 v2, 23, v10
	v_cmp_ne_u32_e32 vcc_lo, 0xff, v10
	v_cvt_f64_f32_e32 v[2:3], v2
	v_cndmask_b32_e32 v2, 0x20000000, v2, vcc_lo
	v_cndmask_b32_e32 v3, 0x7ff80000, v3, vcc_lo
	v_cmp_ne_u32_e32 vcc_lo, 0, v10
	v_cndmask_b32_e32 v3, 0x38000000, v3, vcc_lo
	v_cndmask_b32_e32 v2, 0, v2, vcc_lo
	s_branch .LBB6_1506
.LBB6_1505:
	s_mov_b32 s0, -1
                                        ; implicit-def: $vgpr2_vgpr3
.LBB6_1506:
	s_mov_b32 s11, 0
.LBB6_1507:
	s_and_b32 vcc_lo, exec_lo, s11
	s_cbranch_vccz .LBB6_1511
; %bb.1508:
	s_cmp_eq_u32 s5, 29
	s_cbranch_scc0 .LBB6_1510
; %bb.1509:
	global_load_dwordx2 v[2:3], v[6:7], off
	s_mov_b32 s0, 0
	s_mov_b32 s10, -1
	s_mov_b32 s11, 0
	s_waitcnt vmcnt(0)
	v_cvt_f64_u32_e32 v[10:11], v3
	v_cvt_f64_u32_e32 v[2:3], v2
	v_ldexp_f64 v[10:11], v[10:11], 32
	v_add_f64 v[2:3], v[10:11], v[2:3]
	s_branch .LBB6_1512
.LBB6_1510:
	s_mov_b32 s0, -1
                                        ; implicit-def: $vgpr2_vgpr3
.LBB6_1511:
	s_mov_b32 s11, 0
.LBB6_1512:
	s_and_b32 vcc_lo, exec_lo, s11
	s_cbranch_vccz .LBB6_1532
; %bb.1513:
	s_cmp_lt_i32 s5, 27
	s_cbranch_scc1 .LBB6_1516
; %bb.1514:
	s_cmp_gt_i32 s5, 27
	s_cbranch_scc0 .LBB6_1517
; %bb.1515:
	global_load_dword v2, v[6:7], off
	s_mov_b32 s10, 0
	s_waitcnt vmcnt(0)
	v_cvt_f64_u32_e32 v[2:3], v2
	s_branch .LBB6_1518
.LBB6_1516:
	s_mov_b32 s10, -1
                                        ; implicit-def: $vgpr2_vgpr3
	s_branch .LBB6_1521
.LBB6_1517:
	s_mov_b32 s10, -1
                                        ; implicit-def: $vgpr2_vgpr3
.LBB6_1518:
	s_andn2_b32 vcc_lo, exec_lo, s10
	s_cbranch_vccnz .LBB6_1520
; %bb.1519:
	global_load_ushort v2, v[6:7], off
	s_waitcnt vmcnt(0)
	v_cvt_f64_u32_e32 v[2:3], v2
.LBB6_1520:
	s_mov_b32 s10, 0
.LBB6_1521:
	s_andn2_b32 vcc_lo, exec_lo, s10
	s_cbranch_vccnz .LBB6_1531
; %bb.1522:
	global_load_ubyte v10, v[6:7], off
	s_mov_b32 s10, 0
	s_mov_b32 s11, exec_lo
	s_waitcnt vmcnt(0)
	v_cmpx_lt_i16_e32 0x7f, v10
	s_xor_b32 s11, exec_lo, s11
	s_cbranch_execz .LBB6_1526
; %bb.1523:
	s_mov_b32 s10, -1
	s_mov_b32 s12, exec_lo
	v_cmpx_eq_u16_e32 0x80, v10
; %bb.1524:
	s_xor_b32 s10, exec_lo, -1
; %bb.1525:
	s_or_b32 exec_lo, exec_lo, s12
	s_and_b32 s10, s10, exec_lo
.LBB6_1526:
	s_or_saveexec_b32 s11, s11
	v_bfrev_b32_e32 v2, 4
	v_mov_b32_e32 v3, 0x7ff80000
	s_xor_b32 exec_lo, exec_lo, s11
; %bb.1527:
	v_cmp_ne_u16_e32 vcc_lo, 0, v10
	v_mov_b32_e32 v2, 0
	v_mov_b32_e32 v3, 0
	s_andn2_b32 s10, s10, exec_lo
	s_and_b32 s12, vcc_lo, exec_lo
	s_or_b32 s10, s10, s12
; %bb.1528:
	s_or_b32 exec_lo, exec_lo, s11
	s_and_saveexec_b32 s11, s10
	s_cbranch_execz .LBB6_1530
; %bb.1529:
	v_and_b32_e32 v2, 0xffff, v10
	v_lshlrev_b32_e32 v10, 24, v10
	v_and_b32_e32 v3, 7, v2
	v_bfe_u32 v13, v2, 3, 4
	v_ffbh_u32_e32 v11, v3
	v_cmp_eq_u32_e32 vcc_lo, 0, v13
	v_min_u32_e32 v11, 32, v11
	v_subrev_nc_u32_e32 v12, 28, v11
	v_sub_nc_u32_e32 v11, 29, v11
	v_lshlrev_b32_e32 v2, v12, v2
	v_cndmask_b32_e32 v11, v13, v11, vcc_lo
	v_and_b32_e32 v2, 7, v2
	v_cndmask_b32_e32 v2, v3, v2, vcc_lo
	v_and_b32_e32 v3, 0x80000000, v10
	v_lshl_add_u32 v10, v11, 23, 0x3b800000
	v_lshlrev_b32_e32 v2, 20, v2
	v_or3_b32 v2, v3, v10, v2
	v_cvt_f64_f32_e32 v[2:3], v2
.LBB6_1530:
	s_or_b32 exec_lo, exec_lo, s11
.LBB6_1531:
	s_mov_b32 s10, -1
.LBB6_1532:
	s_mov_b32 s11, 0
.LBB6_1533:
	s_and_b32 vcc_lo, exec_lo, s11
	s_cbranch_vccz .LBB6_1564
; %bb.1534:
	s_cmp_gt_i32 s5, 22
	s_cbranch_scc0 .LBB6_1546
; %bb.1535:
	s_cmp_lt_i32 s5, 24
	s_cbranch_scc1 .LBB6_1547
; %bb.1536:
	s_cmp_gt_i32 s5, 24
	s_cbranch_scc0 .LBB6_1548
; %bb.1537:
	global_load_ubyte v10, v[6:7], off
	s_mov_b32 s10, exec_lo
	s_waitcnt vmcnt(0)
	v_cmpx_lt_i16_e32 0x7f, v10
	s_xor_b32 s10, exec_lo, s10
	s_cbranch_execz .LBB6_1541
; %bb.1538:
	s_mov_b32 s3, -1
	s_mov_b32 s11, exec_lo
	v_cmpx_eq_u16_e32 0x80, v10
; %bb.1539:
	s_xor_b32 s3, exec_lo, -1
; %bb.1540:
	s_or_b32 exec_lo, exec_lo, s11
	s_and_b32 s3, s3, exec_lo
.LBB6_1541:
	s_or_saveexec_b32 s10, s10
	v_bfrev_b32_e32 v2, 4
	v_mov_b32_e32 v3, 0x7ff80000
	s_xor_b32 exec_lo, exec_lo, s10
; %bb.1542:
	v_cmp_ne_u16_e32 vcc_lo, 0, v10
	v_mov_b32_e32 v2, 0
	v_mov_b32_e32 v3, 0
	s_andn2_b32 s3, s3, exec_lo
	s_and_b32 s11, vcc_lo, exec_lo
	s_or_b32 s3, s3, s11
; %bb.1543:
	s_or_b32 exec_lo, exec_lo, s10
	s_and_saveexec_b32 s10, s3
	s_cbranch_execz .LBB6_1545
; %bb.1544:
	v_and_b32_e32 v2, 0xffff, v10
	v_lshlrev_b32_e32 v10, 24, v10
	v_and_b32_e32 v3, 3, v2
	v_bfe_u32 v13, v2, 2, 5
	v_ffbh_u32_e32 v11, v3
	v_cmp_eq_u32_e32 vcc_lo, 0, v13
	v_min_u32_e32 v11, 32, v11
	v_subrev_nc_u32_e32 v12, 29, v11
	v_sub_nc_u32_e32 v11, 30, v11
	v_lshlrev_b32_e32 v2, v12, v2
	v_cndmask_b32_e32 v11, v13, v11, vcc_lo
	v_and_b32_e32 v2, 3, v2
	v_cndmask_b32_e32 v2, v3, v2, vcc_lo
	v_and_b32_e32 v3, 0x80000000, v10
	v_lshl_add_u32 v10, v11, 23, 0x37800000
	v_lshlrev_b32_e32 v2, 21, v2
	v_or3_b32 v2, v3, v10, v2
	v_cvt_f64_f32_e32 v[2:3], v2
.LBB6_1545:
	s_or_b32 exec_lo, exec_lo, s10
	s_mov_b32 s3, 0
	s_branch .LBB6_1549
.LBB6_1546:
	s_mov_b32 s3, -1
                                        ; implicit-def: $vgpr2_vgpr3
	s_branch .LBB6_1555
.LBB6_1547:
	s_mov_b32 s3, -1
                                        ; implicit-def: $vgpr2_vgpr3
	s_branch .LBB6_1552
.LBB6_1548:
	s_mov_b32 s3, -1
                                        ; implicit-def: $vgpr2_vgpr3
.LBB6_1549:
	s_and_b32 vcc_lo, exec_lo, s3
	s_cbranch_vccz .LBB6_1551
; %bb.1550:
	global_load_ubyte v2, v[6:7], off
	s_waitcnt vmcnt(0)
	v_lshlrev_b32_e32 v2, 24, v2
	v_and_b32_e32 v3, 0x7f000000, v2
	v_ffbh_u32_e32 v10, v3
	v_add_nc_u32_e32 v12, 0x1000000, v3
	v_cmp_ne_u32_e32 vcc_lo, 0, v3
	v_min_u32_e32 v10, 32, v10
	v_sub_nc_u32_e64 v10, v10, 4 clamp
	v_lshlrev_b32_e32 v11, v10, v3
	v_lshlrev_b32_e32 v10, 23, v10
	v_lshrrev_b32_e32 v11, 4, v11
	v_sub_nc_u32_e32 v10, v11, v10
	v_ashrrev_i32_e32 v11, 8, v12
	v_add_nc_u32_e32 v10, 0x3c000000, v10
	v_and_or_b32 v10, 0x7f800000, v11, v10
	v_cndmask_b32_e32 v3, 0, v10, vcc_lo
	v_and_or_b32 v2, 0x80000000, v2, v3
	v_cvt_f64_f32_e32 v[2:3], v2
.LBB6_1551:
	s_mov_b32 s3, 0
.LBB6_1552:
	s_andn2_b32 vcc_lo, exec_lo, s3
	s_cbranch_vccnz .LBB6_1554
; %bb.1553:
	global_load_ubyte v2, v[6:7], off
	s_waitcnt vmcnt(0)
	v_lshlrev_b32_e32 v3, 25, v2
	v_lshlrev_b16 v2, 8, v2
	v_lshrrev_b32_e32 v10, 4, v3
	v_and_or_b32 v11, 0x7f00, v2, 0.5
	v_cmp_gt_u32_e32 vcc_lo, 0x8000000, v3
	v_bfe_i32 v2, v2, 0, 16
	v_or_b32_e32 v10, 0x70000000, v10
	v_add_f32_e32 v11, -0.5, v11
	v_mul_f32_e32 v10, 0x7800000, v10
	v_cndmask_b32_e32 v3, v10, v11, vcc_lo
	v_and_or_b32 v2, 0x80000000, v2, v3
	v_cvt_f64_f32_e32 v[2:3], v2
.LBB6_1554:
	s_mov_b32 s3, 0
	s_mov_b32 s10, -1
.LBB6_1555:
	s_andn2_b32 vcc_lo, exec_lo, s3
	s_mov_b32 s3, 0
	s_cbranch_vccnz .LBB6_1564
; %bb.1556:
	s_cmp_gt_i32 s5, 14
	s_cbranch_scc0 .LBB6_1559
; %bb.1557:
	s_cmp_eq_u32 s5, 15
	s_cbranch_scc0 .LBB6_1560
; %bb.1558:
	global_load_ushort v2, v[6:7], off
	s_mov_b32 s0, 0
	s_mov_b32 s10, -1
	s_waitcnt vmcnt(0)
	v_lshlrev_b32_e32 v2, 16, v2
	v_cvt_f64_f32_e32 v[2:3], v2
	s_branch .LBB6_1562
.LBB6_1559:
	s_mov_b32 s3, -1
	s_branch .LBB6_1561
.LBB6_1560:
	s_mov_b32 s0, -1
.LBB6_1561:
                                        ; implicit-def: $vgpr2_vgpr3
.LBB6_1562:
	s_and_b32 vcc_lo, exec_lo, s3
	s_mov_b32 s3, 0
	s_cbranch_vccz .LBB6_1564
; %bb.1563:
	s_cmp_lg_u32 s5, 11
	s_mov_b32 s3, -1
	s_cselect_b32 s0, -1, 0
.LBB6_1564:
	s_and_b32 vcc_lo, exec_lo, s0
	s_cbranch_vccnz .LBB6_2108
; %bb.1565:
	s_andn2_b32 vcc_lo, exec_lo, s3
	s_cbranch_vccnz .LBB6_1567
.LBB6_1566:
	global_load_ubyte v2, v[6:7], off
	s_mov_b32 s10, -1
	s_waitcnt vmcnt(0)
	v_cmp_ne_u16_e32 vcc_lo, 0, v2
	v_mov_b32_e32 v2, 0
	v_cndmask_b32_e64 v3, 0, 0x3ff00000, vcc_lo
.LBB6_1567:
	s_mov_b32 s0, 0
.LBB6_1568:
	s_and_b32 vcc_lo, exec_lo, s0
	s_cbranch_vccz .LBB6_1617
; %bb.1569:
	s_cmp_lt_i32 s5, 5
	s_cbranch_scc1 .LBB6_1574
; %bb.1570:
	s_cmp_lt_i32 s5, 8
	s_cbranch_scc1 .LBB6_1575
	;; [unrolled: 3-line block ×3, first 2 shown]
; %bb.1572:
	s_cmp_gt_i32 s5, 9
	s_cbranch_scc0 .LBB6_1577
; %bb.1573:
	global_load_dwordx2 v[2:3], v[6:7], off
	s_mov_b32 s0, 0
	s_branch .LBB6_1578
.LBB6_1574:
	s_mov_b32 s0, -1
                                        ; implicit-def: $vgpr2_vgpr3
	s_branch .LBB6_1596
.LBB6_1575:
	s_mov_b32 s0, -1
                                        ; implicit-def: $vgpr2_vgpr3
	s_branch .LBB6_1584
.LBB6_1576:
	s_mov_b32 s0, -1
                                        ; implicit-def: $vgpr2_vgpr3
	s_branch .LBB6_1581
.LBB6_1577:
	s_mov_b32 s0, -1
                                        ; implicit-def: $vgpr2_vgpr3
.LBB6_1578:
	s_andn2_b32 vcc_lo, exec_lo, s0
	s_cbranch_vccnz .LBB6_1580
; %bb.1579:
	global_load_dword v2, v[6:7], off
	s_waitcnt vmcnt(0)
	v_cvt_f64_f32_e32 v[2:3], v2
.LBB6_1580:
	s_mov_b32 s0, 0
.LBB6_1581:
	s_andn2_b32 vcc_lo, exec_lo, s0
	s_cbranch_vccnz .LBB6_1583
; %bb.1582:
	global_load_dword v2, v[6:7], off
	s_waitcnt vmcnt(0)
	v_cvt_f32_f16_e32 v2, v2
	v_cvt_f64_f32_e32 v[2:3], v2
.LBB6_1583:
	s_mov_b32 s0, 0
.LBB6_1584:
	s_andn2_b32 vcc_lo, exec_lo, s0
	s_cbranch_vccnz .LBB6_1595
; %bb.1585:
	s_cmp_lt_i32 s5, 6
	s_cbranch_scc1 .LBB6_1588
; %bb.1586:
	s_cmp_gt_i32 s5, 6
	s_cbranch_scc0 .LBB6_1589
; %bb.1587:
	global_load_dwordx2 v[2:3], v[6:7], off
	s_mov_b32 s0, 0
	s_branch .LBB6_1590
.LBB6_1588:
	s_mov_b32 s0, -1
                                        ; implicit-def: $vgpr2_vgpr3
	s_branch .LBB6_1593
.LBB6_1589:
	s_mov_b32 s0, -1
                                        ; implicit-def: $vgpr2_vgpr3
.LBB6_1590:
	s_andn2_b32 vcc_lo, exec_lo, s0
	s_cbranch_vccnz .LBB6_1592
; %bb.1591:
	global_load_dword v2, v[6:7], off
	s_waitcnt vmcnt(0)
	v_cvt_f64_f32_e32 v[2:3], v2
.LBB6_1592:
	s_mov_b32 s0, 0
.LBB6_1593:
	s_andn2_b32 vcc_lo, exec_lo, s0
	s_cbranch_vccnz .LBB6_1595
; %bb.1594:
	global_load_ushort v2, v[6:7], off
	s_waitcnt vmcnt(0)
	v_cvt_f32_f16_e32 v2, v2
	v_cvt_f64_f32_e32 v[2:3], v2
.LBB6_1595:
	s_mov_b32 s0, 0
.LBB6_1596:
	s_andn2_b32 vcc_lo, exec_lo, s0
	s_cbranch_vccnz .LBB6_1616
; %bb.1597:
	s_cmp_lt_i32 s5, 2
	s_cbranch_scc1 .LBB6_1601
; %bb.1598:
	s_cmp_lt_i32 s5, 3
	s_cbranch_scc1 .LBB6_1602
; %bb.1599:
	s_cmp_gt_i32 s5, 3
	s_cbranch_scc0 .LBB6_1603
; %bb.1600:
	global_load_dwordx2 v[2:3], v[6:7], off
	s_mov_b32 s0, 0
	s_waitcnt vmcnt(0)
	v_cvt_f64_i32_e32 v[10:11], v3
	v_cvt_f64_u32_e32 v[2:3], v2
	v_ldexp_f64 v[10:11], v[10:11], 32
	v_add_f64 v[2:3], v[10:11], v[2:3]
	s_branch .LBB6_1604
.LBB6_1601:
	s_mov_b32 s0, -1
                                        ; implicit-def: $vgpr2_vgpr3
	s_branch .LBB6_1610
.LBB6_1602:
	s_mov_b32 s0, -1
                                        ; implicit-def: $vgpr2_vgpr3
	s_branch .LBB6_1607
.LBB6_1603:
	s_mov_b32 s0, -1
                                        ; implicit-def: $vgpr2_vgpr3
.LBB6_1604:
	s_andn2_b32 vcc_lo, exec_lo, s0
	s_cbranch_vccnz .LBB6_1606
; %bb.1605:
	global_load_dword v2, v[6:7], off
	s_waitcnt vmcnt(0)
	v_cvt_f64_i32_e32 v[2:3], v2
.LBB6_1606:
	s_mov_b32 s0, 0
.LBB6_1607:
	s_andn2_b32 vcc_lo, exec_lo, s0
	s_cbranch_vccnz .LBB6_1609
; %bb.1608:
	global_load_sshort v2, v[6:7], off
	s_waitcnt vmcnt(0)
	v_cvt_f64_i32_e32 v[2:3], v2
.LBB6_1609:
	s_mov_b32 s0, 0
.LBB6_1610:
	s_andn2_b32 vcc_lo, exec_lo, s0
	s_cbranch_vccnz .LBB6_1616
; %bb.1611:
	s_cmp_gt_i32 s5, 0
	s_mov_b32 s0, 0
	s_cbranch_scc0 .LBB6_1613
; %bb.1612:
	global_load_sbyte v2, v[6:7], off
	s_waitcnt vmcnt(0)
	v_cvt_f64_i32_e32 v[2:3], v2
	s_branch .LBB6_1614
.LBB6_1613:
	s_mov_b32 s0, -1
                                        ; implicit-def: $vgpr2_vgpr3
.LBB6_1614:
	s_andn2_b32 vcc_lo, exec_lo, s0
	s_cbranch_vccnz .LBB6_1616
; %bb.1615:
	global_load_ubyte v2, v[6:7], off
	s_waitcnt vmcnt(0)
	v_cvt_f64_u32_e32 v[2:3], v2
.LBB6_1616:
	s_mov_b32 s10, -1
.LBB6_1617:
	s_andn2_b32 vcc_lo, exec_lo, s10
	s_cbranch_vccnz .LBB6_1706
; %bb.1618:
	v_mov_b32_e32 v12, 0
	v_mov_b32_e32 v13, 0
	s_mov_b32 s3, exec_lo
	s_waitcnt vmcnt(0)
	v_cmpx_neq_f64_e64 0x7ff00000, |v[2:3]|
	s_cbranch_execz .LBB6_1628
; %bb.1619:
	s_mov_b32 s5, exec_lo
                                        ; implicit-def: $vgpr12_vgpr13
	v_cmpx_nlt_f64_e64 |v[2:3]|, 0.5
	s_xor_b32 s5, exec_lo, s5
	s_cbranch_execz .LBB6_1625
; %bb.1620:
	v_cmp_ngt_f64_e64 s0, 0x41d00000, |v[2:3]|
                                        ; implicit-def: $vgpr12
                                        ; implicit-def: $vgpr6_vgpr7
                                        ; implicit-def: $vgpr10_vgpr11
	s_and_saveexec_b32 s10, s0
	s_xor_b32 s0, exec_lo, s10
	s_cbranch_execz .LBB6_1622
; %bb.1621:
	v_ldexp_f64 v[6:7], |v[2:3]|, 0xffffff80
	v_cmp_le_f64_e64 vcc_lo, 0x7b000000, |v[2:3]|
	v_trig_preop_f64 v[10:11], |v[2:3]|, 0
	v_and_b32_e32 v12, 0x7fffffff, v3
	v_trig_preop_f64 v[23:24], |v[2:3]|, 2
	v_mov_b32_e32 v31, 0
	s_mov_b32 s10, 0x54442d18
	s_mov_b32 s11, 0x3ff921fb
	;; [unrolled: 1-line block ×4, first 2 shown]
	v_cndmask_b32_e32 v7, v12, v7, vcc_lo
	v_cndmask_b32_e32 v6, v2, v6, vcc_lo
	v_trig_preop_f64 v[12:13], |v[2:3]|, 1
	v_mul_f64 v[15:16], v[10:11], v[6:7]
	v_mul_f64 v[29:30], v[23:24], v[6:7]
	;; [unrolled: 1-line block ×3, first 2 shown]
	v_fma_f64 v[10:11], v[10:11], v[6:7], -v[15:16]
	v_fma_f64 v[12:13], v[12:13], v[6:7], -v[17:18]
	;; [unrolled: 1-line block ×3, first 2 shown]
	v_add_f64 v[19:20], v[17:18], v[10:11]
	v_add_f64 v[21:22], v[19:20], -v[17:18]
	v_add_f64 v[27:28], v[15:16], v[19:20]
	v_add_f64 v[25:26], v[19:20], -v[21:22]
	v_add_f64 v[10:11], v[10:11], -v[21:22]
	v_ldexp_f64 v[21:22], v[27:28], -2
	v_add_f64 v[15:16], v[27:28], -v[15:16]
	v_add_f64 v[17:18], v[17:18], -v[25:26]
	v_add_f64 v[25:26], v[29:30], v[12:13]
	v_cmp_neq_f64_e64 vcc_lo, 0x7ff00000, |v[21:22]|
	v_add_f64 v[15:16], v[19:20], -v[15:16]
	v_add_f64 v[10:11], v[10:11], v[17:18]
	v_fract_f64_e32 v[17:18], v[21:22]
	v_add_f64 v[19:20], v[25:26], v[10:11]
	v_ldexp_f64 v[17:18], v[17:18], 2
	v_add_f64 v[21:22], v[15:16], v[19:20]
	v_cndmask_b32_e32 v18, 0, v18, vcc_lo
	v_cndmask_b32_e32 v17, 0, v17, vcc_lo
	v_add_f64 v[27:28], v[21:22], v[17:18]
	v_add_f64 v[15:16], v[21:22], -v[15:16]
	v_cmp_gt_f64_e32 vcc_lo, 0, v[27:28]
	v_add_f64 v[27:28], v[25:26], -v[29:30]
	v_cndmask_b32_e64 v32, 0, 0x40100000, vcc_lo
	v_add_f64 v[36:37], v[25:26], -v[27:28]
	v_add_f64 v[12:13], v[12:13], -v[27:28]
	v_add_f64 v[17:18], v[17:18], v[31:32]
	v_add_f64 v[32:33], v[19:20], -v[25:26]
	v_add_f64 v[27:28], v[29:30], -v[36:37]
	v_add_f64 v[34:35], v[21:22], v[17:18]
	;; [unrolled: 3-line block ×3, first 2 shown]
	v_cvt_i32_f64_e32 v34, v[34:35]
	v_add_f64 v[25:26], v[25:26], -v[38:39]
	v_cvt_f64_i32_e32 v[32:33], v34
	v_add_f64 v[10:11], v[10:11], v[25:26]
	v_add_f64 v[17:18], v[17:18], -v[32:33]
	v_add_f64 v[10:11], v[12:13], v[10:11]
	v_add_f64 v[12:13], v[19:20], -v[15:16]
	v_add_f64 v[23:24], v[21:22], v[17:18]
	v_add_f64 v[6:7], v[6:7], v[10:11]
	v_add_f64 v[10:11], v[23:24], -v[17:18]
	v_cmp_le_f64_e32 vcc_lo, 0.5, v[23:24]
	v_add_f64 v[6:7], v[12:13], v[6:7]
	v_add_f64 v[10:11], v[21:22], -v[10:11]
	v_cndmask_b32_e64 v32, 0, 0x3ff00000, vcc_lo
	v_add_co_ci_u32_e64 v12, null, 0, v34, vcc_lo
	v_add_f64 v[6:7], v[6:7], v[10:11]
	v_add_f64 v[10:11], v[23:24], -v[31:32]
	v_add_f64 v[15:16], v[10:11], v[6:7]
	v_mul_f64 v[17:18], v[15:16], s[10:11]
	v_add_f64 v[10:11], v[15:16], -v[10:11]
	v_fma_f64 v[19:20], v[15:16], s[10:11], -v[17:18]
	v_add_f64 v[6:7], v[6:7], -v[10:11]
	v_fma_f64 v[10:11], v[15:16], s[12:13], v[19:20]
	v_fma_f64 v[10:11], v[6:7], s[10:11], v[10:11]
	v_add_f64 v[6:7], v[17:18], v[10:11]
	v_add_f64 v[15:16], v[6:7], -v[17:18]
	v_add_f64 v[10:11], v[10:11], -v[15:16]
.LBB6_1622:
	s_andn2_saveexec_b32 s0, s0
	s_cbranch_execz .LBB6_1624
; %bb.1623:
	s_mov_b32 s10, 0x6dc9c883
	s_mov_b32 s11, 0x3fe45f30
	;; [unrolled: 1-line block ×3, first 2 shown]
	v_mul_f64 v[6:7], |v[2:3]|, s[10:11]
	s_mov_b32 s10, 0x54442d18
	s_mov_b32 s11, 0xbff921fb
	;; [unrolled: 1-line block ×3, first 2 shown]
	v_rndne_f64_e32 v[12:13], v[6:7]
	v_fma_f64 v[6:7], v[12:13], s[10:11], |v[2:3]|
	v_mul_f64 v[10:11], v[12:13], s[12:13]
	s_mov_b32 s10, 0x252049c0
	s_mov_b32 s11, 0xb97b839a
	v_fma_f64 v[17:18], v[12:13], s[12:13], v[6:7]
	v_add_f64 v[15:16], v[6:7], v[10:11]
	s_mov_b32 s13, 0x3c91a626
	v_add_f64 v[6:7], v[6:7], -v[15:16]
	v_add_f64 v[15:16], v[15:16], -v[17:18]
	v_add_f64 v[6:7], v[6:7], v[10:11]
	v_fma_f64 v[10:11], v[12:13], s[12:13], v[10:11]
	v_add_f64 v[6:7], v[15:16], v[6:7]
	v_add_f64 v[6:7], v[6:7], -v[10:11]
	v_fma_f64 v[10:11], v[12:13], s[10:11], v[6:7]
	v_cvt_i32_f64_e32 v12, v[12:13]
	v_add_f64 v[6:7], v[17:18], v[10:11]
	v_add_f64 v[15:16], v[6:7], -v[17:18]
	v_add_f64 v[10:11], v[10:11], -v[15:16]
.LBB6_1624:
	s_or_b32 exec_lo, exec_lo, s0
	v_mul_f64 v[15:16], v[6:7], v[6:7]
	s_mov_b32 s10, 0xb42fdfa7
	s_mov_b32 s12, 0xf9a43bb8
	;; [unrolled: 1-line block ×6, first 2 shown]
	v_mul_f64 v[25:26], v[10:11], 0.5
	v_cmp_class_f64_e64 s0, v[2:3], 0x1f8
	v_fma_f64 v[17:18], v[15:16], s[12:13], s[10:11]
	s_mov_b32 s10, 0x9037ab78
	s_mov_b32 s12, 0x46cc5e42
	;; [unrolled: 1-line block ×4, first 2 shown]
	v_mul_f64 v[21:22], v[15:16], 0.5
	v_fma_f64 v[19:20], v[15:16], s[12:13], s[10:11]
	s_mov_b32 s10, 0xa17f65f6
	s_mov_b32 s12, 0x19e83e5c
	s_mov_b32 s11, 0xbe927e4f
	s_mov_b32 s13, 0xbf2a01a0
	v_mul_f64 v[27:28], v[6:7], -v[15:16]
	v_fma_f64 v[17:18], v[15:16], v[17:18], s[14:15]
	v_add_f64 v[23:24], -v[21:22], 1.0
	v_fma_f64 v[19:20], v[15:16], v[19:20], s[10:11]
	s_mov_b32 s10, 0x19f4ec90
	s_mov_b32 s11, 0x3efa01a0
	v_fma_f64 v[17:18], v[15:16], v[17:18], s[12:13]
	s_mov_b32 s12, 0x11110bb3
	s_mov_b32 s13, 0x3f811111
	v_add_f64 v[29:30], -v[23:24], 1.0
	v_fma_f64 v[19:20], v[15:16], v[19:20], s[10:11]
	s_mov_b32 s10, 0x16c16967
	s_mov_b32 s11, 0xbf56c16c
	v_fma_f64 v[17:18], v[15:16], v[17:18], s[12:13]
	v_add_f64 v[21:22], v[29:30], -v[21:22]
	v_fma_f64 v[19:20], v[15:16], v[19:20], s[10:11]
	s_mov_b32 s11, 0x3fa55555
	s_mov_b32 s10, 0x55555555
	v_fma_f64 v[17:18], v[27:28], v[17:18], v[25:26]
	v_mul_f64 v[25:26], v[15:16], v[15:16]
	v_fma_f64 v[21:22], v[6:7], -v[10:11], v[21:22]
	v_fma_f64 v[19:20], v[15:16], v[19:20], s[10:11]
	s_mov_b32 s11, 0xbfc55555
	v_fma_f64 v[10:11], v[15:16], v[17:18], -v[10:11]
	v_fma_f64 v[15:16], v[25:26], v[19:20], v[21:22]
	v_fma_f64 v[10:11], v[27:28], s[10:11], v[10:11]
	v_add_f64 v[15:16], v[23:24], v[15:16]
	v_add_f64 v[6:7], v[6:7], -v[10:11]
	v_and_b32_e32 v10, 1, v12
	v_cmp_eq_u32_e32 vcc_lo, 0, v10
	v_lshlrev_b32_e32 v10, 30, v12
	v_xor_b32_e32 v10, v10, v3
	v_and_b32_e32 v10, 0x80000000, v10
	v_cndmask_b32_e32 v7, v16, v7, vcc_lo
	v_cndmask_b32_e32 v6, v15, v6, vcc_lo
	v_xor_b32_e32 v7, v7, v10
	v_cndmask_b32_e64 v6, 0, v6, s0
	v_cndmask_b32_e64 v7, 0x7ff80000, v7, s0
	v_div_scale_f64 v[10:11], null, v[2:3], v[2:3], v[6:7]
	v_rcp_f64_e32 v[12:13], v[10:11]
	v_fma_f64 v[15:16], -v[10:11], v[12:13], 1.0
	v_fma_f64 v[12:13], v[12:13], v[15:16], v[12:13]
	v_fma_f64 v[15:16], -v[10:11], v[12:13], 1.0
	v_fma_f64 v[12:13], v[12:13], v[15:16], v[12:13]
	v_div_scale_f64 v[15:16], vcc_lo, v[6:7], v[2:3], v[6:7]
	v_mul_f64 v[17:18], v[15:16], v[12:13]
	v_fma_f64 v[10:11], -v[10:11], v[17:18], v[15:16]
	v_div_fmas_f64 v[10:11], v[10:11], v[12:13], v[17:18]
	v_div_fixup_f64 v[12:13], v[10:11], v[2:3], v[6:7]
                                        ; implicit-def: $vgpr2_vgpr3
.LBB6_1625:
	s_andn2_saveexec_b32 s0, s5
	s_cbranch_execz .LBB6_1627
; %bb.1626:
	v_mul_f64 v[2:3], v[2:3], v[2:3]
	s_mov_b32 s10, 0x67f544e4
	s_mov_b32 s12, 0x13a86d09
	;; [unrolled: 1-line block ×4, first 2 shown]
	v_fma_f64 v[6:7], v[2:3], s[12:13], s[10:11]
	s_mov_b32 s10, 0xa556c734
	s_mov_b32 s11, 0x3ec71de3
	v_fma_f64 v[6:7], v[2:3], v[6:7], s[10:11]
	s_mov_b32 s10, 0x1a01a01a
	s_mov_b32 s11, 0xbf2a01a0
	;; [unrolled: 3-line block ×4, first 2 shown]
	v_fma_f64 v[6:7], v[2:3], v[6:7], s[10:11]
	v_fma_f64 v[12:13], v[2:3], v[6:7], 1.0
.LBB6_1627:
	s_or_b32 exec_lo, exec_lo, s0
.LBB6_1628:
	s_or_b32 exec_lo, exec_lo, s3
	v_mul_lo_u32 v10, s2, v14
	s_and_b32 s12, s1, 0xff
	s_cmp_lt_i32 s12, 11
	v_ashrrev_i32_e32 v2, 31, v10
	v_add_co_u32 v6, vcc_lo, s8, v10
	v_add_co_ci_u32_e64 v7, null, s9, v2, vcc_lo
	s_cbranch_scc1 .LBB6_1751
; %bb.1629:
	s_and_b32 s1, 0xffff, s12
	s_mov_b32 s10, -1
	s_mov_b32 s3, 0
	s_cmp_gt_i32 s1, 25
	s_mov_b32 s5, 0
	s_mov_b32 s0, 0
	s_cbranch_scc0 .LBB6_1662
; %bb.1630:
	s_cmp_gt_i32 s1, 28
	s_cbranch_scc0 .LBB6_1645
; %bb.1631:
	s_cmp_gt_i32 s1, 43
	;; [unrolled: 3-line block ×3, first 2 shown]
	s_cbranch_scc0 .LBB6_1635
; %bb.1633:
	s_mov_b32 s0, -1
	s_mov_b32 s10, 0
	s_cmp_eq_u32 s1, 46
	s_cbranch_scc0 .LBB6_1635
; %bb.1634:
	v_cvt_f32_f64_e32 v2, v[0:1]
	s_mov_b32 s0, 0
	s_mov_b32 s5, -1
	v_bfe_u32 v3, v2, 16, 1
	v_cmp_o_f32_e32 vcc_lo, v2, v2
	v_add3_u32 v2, v2, v3, 0x7fff
	v_mov_b32_e32 v3, 0x7fc0
	v_cndmask_b32_sdwa v2, v3, v2, vcc_lo dst_sel:DWORD dst_unused:UNUSED_PAD src0_sel:DWORD src1_sel:WORD_1
	global_store_dword v[6:7], v2, off
.LBB6_1635:
	s_and_b32 vcc_lo, exec_lo, s10
	s_cbranch_vccz .LBB6_1640
; %bb.1636:
	s_cmp_eq_u32 s1, 44
	s_mov_b32 s0, -1
	s_cbranch_scc0 .LBB6_1640
; %bb.1637:
	v_cvt_f32_f64_e32 v2, v[0:1]
	v_mov_b32_e32 v3, 0xff
	s_mov_b32 s5, exec_lo
	v_bfe_u32 v11, v2, 23, 8
	v_cmpx_ne_u32_e32 0xff, v11
	s_cbranch_execz .LBB6_1639
; %bb.1638:
	v_and_b32_e32 v3, 0x400000, v2
	v_and_or_b32 v11, 0x3fffff, v2, v11
	v_lshrrev_b32_e32 v2, 23, v2
	v_cmp_ne_u32_e32 vcc_lo, 0, v3
	v_cmp_ne_u32_e64 s0, 0, v11
	s_and_b32 s0, vcc_lo, s0
	v_cndmask_b32_e64 v3, 0, 1, s0
	v_add_nc_u32_e32 v3, v2, v3
.LBB6_1639:
	s_or_b32 exec_lo, exec_lo, s5
	s_mov_b32 s0, 0
	s_mov_b32 s5, -1
	global_store_byte v[6:7], v3, off
.LBB6_1640:
	s_mov_b32 s10, 0
.LBB6_1641:
	s_and_b32 vcc_lo, exec_lo, s10
	s_cbranch_vccz .LBB6_1644
; %bb.1642:
	s_cmp_eq_u32 s1, 29
	s_mov_b32 s0, -1
	s_cbranch_scc0 .LBB6_1644
; %bb.1643:
	v_trunc_f64_e32 v[2:3], v[0:1]
	s_mov_b32 s0, 0
	s_mov_b32 s5, -1
	v_ldexp_f64 v[14:15], v[2:3], 0xffffffe0
	v_floor_f64_e32 v[14:15], v[14:15]
	v_fma_f64 v[2:3], 0xc1f00000, v[14:15], v[2:3]
	v_cvt_u32_f64_e32 v15, v[14:15]
	v_cvt_u32_f64_e32 v14, v[2:3]
	global_store_dwordx2 v[6:7], v[14:15], off
.LBB6_1644:
	s_mov_b32 s10, 0
.LBB6_1645:
	s_and_b32 vcc_lo, exec_lo, s10
	s_cbranch_vccz .LBB6_1661
; %bb.1646:
	s_cmp_lt_i32 s1, 27
	s_mov_b32 s5, -1
	s_cbranch_scc1 .LBB6_1652
; %bb.1647:
	v_cvt_u32_f64_e32 v2, v[0:1]
	s_cmp_gt_i32 s1, 27
	s_cbranch_scc0 .LBB6_1649
; %bb.1648:
	s_mov_b32 s5, 0
	global_store_dword v[6:7], v2, off
.LBB6_1649:
	s_andn2_b32 vcc_lo, exec_lo, s5
	s_cbranch_vccnz .LBB6_1651
; %bb.1650:
	global_store_short v[6:7], v2, off
.LBB6_1651:
	s_mov_b32 s5, 0
.LBB6_1652:
	s_andn2_b32 vcc_lo, exec_lo, s5
	s_cbranch_vccnz .LBB6_1660
; %bb.1653:
	v_cvt_f32_f64_e32 v2, v[0:1]
	v_mov_b32_e32 v11, 0x80
	s_mov_b32 s5, exec_lo
	v_and_b32_e32 v3, 0x7fffffff, v2
	v_cmpx_gt_u32_e32 0x43800000, v3
	s_cbranch_execz .LBB6_1659
; %bb.1654:
	v_cmp_lt_u32_e32 vcc_lo, 0x3bffffff, v3
	s_mov_b32 s10, 0
                                        ; implicit-def: $vgpr3
	s_and_saveexec_b32 s11, vcc_lo
	s_xor_b32 s11, exec_lo, s11
	s_cbranch_execz .LBB6_2109
; %bb.1655:
	v_bfe_u32 v3, v2, 20, 1
	s_mov_b32 s10, exec_lo
	v_add3_u32 v3, v2, v3, 0x487ffff
	v_lshrrev_b32_e32 v3, 20, v3
	s_andn2_saveexec_b32 s11, s11
	s_cbranch_execnz .LBB6_2110
.LBB6_1656:
	s_or_b32 exec_lo, exec_lo, s11
	v_mov_b32_e32 v11, 0
	s_and_saveexec_b32 s11, s10
.LBB6_1657:
	v_lshrrev_b32_e32 v2, 24, v2
	v_and_or_b32 v11, 0x80, v2, v3
.LBB6_1658:
	s_or_b32 exec_lo, exec_lo, s11
.LBB6_1659:
	s_or_b32 exec_lo, exec_lo, s5
	global_store_byte v[6:7], v11, off
.LBB6_1660:
	s_mov_b32 s5, -1
.LBB6_1661:
	s_mov_b32 s10, 0
.LBB6_1662:
	s_and_b32 vcc_lo, exec_lo, s10
	s_cbranch_vccz .LBB6_1702
; %bb.1663:
	s_cmp_gt_i32 s1, 22
	s_mov_b32 s3, -1
	s_cbranch_scc0 .LBB6_1695
; %bb.1664:
	s_cmp_lt_i32 s1, 24
	s_cbranch_scc1 .LBB6_1684
; %bb.1665:
	s_cmp_gt_i32 s1, 24
	s_cbranch_scc0 .LBB6_1673
; %bb.1666:
	v_cvt_f32_f64_e32 v2, v[0:1]
	v_mov_b32_e32 v11, 0x80
	s_mov_b32 s3, exec_lo
	v_and_b32_e32 v3, 0x7fffffff, v2
	v_cmpx_gt_u32_e32 0x47800000, v3
	s_cbranch_execz .LBB6_1672
; %bb.1667:
	v_cmp_lt_u32_e32 vcc_lo, 0x37ffffff, v3
	s_mov_b32 s5, 0
                                        ; implicit-def: $vgpr3
	s_and_saveexec_b32 s10, vcc_lo
	s_xor_b32 s10, exec_lo, s10
	s_cbranch_execz .LBB6_2112
; %bb.1668:
	v_bfe_u32 v3, v2, 21, 1
	s_mov_b32 s5, exec_lo
	v_add3_u32 v3, v2, v3, 0x88fffff
	v_lshrrev_b32_e32 v3, 21, v3
	s_andn2_saveexec_b32 s10, s10
	s_cbranch_execnz .LBB6_2113
.LBB6_1669:
	s_or_b32 exec_lo, exec_lo, s10
	v_mov_b32_e32 v11, 0
	s_and_saveexec_b32 s10, s5
.LBB6_1670:
	v_lshrrev_b32_e32 v2, 24, v2
	v_and_or_b32 v11, 0x80, v2, v3
.LBB6_1671:
	s_or_b32 exec_lo, exec_lo, s10
.LBB6_1672:
	s_or_b32 exec_lo, exec_lo, s3
	s_mov_b32 s3, 0
	global_store_byte v[6:7], v11, off
.LBB6_1673:
	s_and_b32 vcc_lo, exec_lo, s3
	s_cbranch_vccz .LBB6_1683
; %bb.1674:
	v_cvt_f32_f64_e32 v2, v[0:1]
	s_mov_b32 s3, exec_lo
                                        ; implicit-def: $vgpr3
	v_and_b32_e32 v11, 0x7fffffff, v2
	v_cmpx_gt_u32_e32 0x43f00000, v11
	s_xor_b32 s3, exec_lo, s3
	s_cbranch_execz .LBB6_1680
; %bb.1675:
	s_mov_b32 s5, exec_lo
                                        ; implicit-def: $vgpr3
	v_cmpx_lt_u32_e32 0x3c7fffff, v11
	s_xor_b32 s5, exec_lo, s5
; %bb.1676:
	v_bfe_u32 v3, v2, 20, 1
	v_add3_u32 v3, v2, v3, 0x407ffff
	v_and_b32_e32 v11, 0xff00000, v3
	v_lshrrev_b32_e32 v3, 20, v3
	v_cmp_ne_u32_e32 vcc_lo, 0x7f00000, v11
	v_cndmask_b32_e32 v3, 0x7e, v3, vcc_lo
; %bb.1677:
	s_andn2_saveexec_b32 s5, s5
; %bb.1678:
	v_add_f32_e64 v3, 0x46800000, |v2|
; %bb.1679:
	s_or_b32 exec_lo, exec_lo, s5
                                        ; implicit-def: $vgpr11
.LBB6_1680:
	s_andn2_saveexec_b32 s3, s3
; %bb.1681:
	v_mov_b32_e32 v3, 0x7f
	v_cmp_lt_u32_e32 vcc_lo, 0x7f800000, v11
	v_cndmask_b32_e32 v3, 0x7e, v3, vcc_lo
; %bb.1682:
	s_or_b32 exec_lo, exec_lo, s3
	v_lshrrev_b32_e32 v2, 24, v2
	v_and_or_b32 v2, 0x80, v2, v3
	global_store_byte v[6:7], v2, off
.LBB6_1683:
	s_mov_b32 s3, 0
.LBB6_1684:
	s_andn2_b32 vcc_lo, exec_lo, s3
	s_cbranch_vccnz .LBB6_1694
; %bb.1685:
	v_cvt_f32_f64_e32 v2, v[0:1]
	s_mov_b32 s3, exec_lo
                                        ; implicit-def: $vgpr3
	v_and_b32_e32 v11, 0x7fffffff, v2
	v_cmpx_gt_u32_e32 0x47800000, v11
	s_xor_b32 s3, exec_lo, s3
	s_cbranch_execz .LBB6_1691
; %bb.1686:
	s_mov_b32 s5, exec_lo
                                        ; implicit-def: $vgpr3
	v_cmpx_lt_u32_e32 0x387fffff, v11
	s_xor_b32 s5, exec_lo, s5
; %bb.1687:
	v_bfe_u32 v3, v2, 21, 1
	v_add3_u32 v3, v2, v3, 0x80fffff
	v_lshrrev_b32_e32 v3, 21, v3
; %bb.1688:
	s_andn2_saveexec_b32 s5, s5
; %bb.1689:
	v_add_f32_e64 v3, 0x43000000, |v2|
; %bb.1690:
	s_or_b32 exec_lo, exec_lo, s5
                                        ; implicit-def: $vgpr11
.LBB6_1691:
	s_andn2_saveexec_b32 s3, s3
; %bb.1692:
	v_mov_b32_e32 v3, 0x7f
	v_cmp_lt_u32_e32 vcc_lo, 0x7f800000, v11
	v_cndmask_b32_e32 v3, 0x7c, v3, vcc_lo
; %bb.1693:
	s_or_b32 exec_lo, exec_lo, s3
	v_lshrrev_b32_e32 v2, 24, v2
	v_and_or_b32 v2, 0x80, v2, v3
	global_store_byte v[6:7], v2, off
.LBB6_1694:
	s_mov_b32 s3, 0
	s_mov_b32 s5, -1
.LBB6_1695:
	s_andn2_b32 vcc_lo, exec_lo, s3
	s_mov_b32 s3, 0
	s_cbranch_vccnz .LBB6_1702
; %bb.1696:
	s_cmp_gt_i32 s1, 14
	s_mov_b32 s3, -1
	s_cbranch_scc0 .LBB6_1700
; %bb.1697:
	s_cmp_eq_u32 s1, 15
	s_mov_b32 s0, -1
	s_cbranch_scc0 .LBB6_1699
; %bb.1698:
	v_cvt_f32_f64_e32 v2, v[0:1]
	s_mov_b32 s0, 0
	s_mov_b32 s5, -1
	v_bfe_u32 v3, v2, 16, 1
	v_cmp_o_f32_e32 vcc_lo, v2, v2
	v_add3_u32 v2, v2, v3, 0x7fff
	v_mov_b32_e32 v3, 0x7fc0
	v_cndmask_b32_sdwa v2, v3, v2, vcc_lo dst_sel:DWORD dst_unused:UNUSED_PAD src0_sel:DWORD src1_sel:WORD_1
	global_store_short v[6:7], v2, off
.LBB6_1699:
	s_mov_b32 s3, 0
.LBB6_1700:
	s_and_b32 vcc_lo, exec_lo, s3
	s_mov_b32 s3, 0
	s_cbranch_vccz .LBB6_1702
; %bb.1701:
	s_cmp_lg_u32 s1, 11
	s_mov_b32 s3, -1
	s_cselect_b32 s0, -1, 0
.LBB6_1702:
	s_and_b32 vcc_lo, exec_lo, s0
	s_cbranch_vccnz .LBB6_2111
; %bb.1703:
	s_andn2_b32 vcc_lo, exec_lo, s3
	s_cbranch_vccnz .LBB6_1705
.LBB6_1704:
	v_cmp_neq_f64_e32 vcc_lo, 0, v[0:1]
	s_mov_b32 s5, -1
	v_cndmask_b32_e64 v2, 0, 1, vcc_lo
	global_store_byte v[6:7], v2, off
.LBB6_1705:
	s_mov_b32 s0, 0
	s_branch .LBB6_1752
.LBB6_1706:
	s_mov_b32 s0, 0
	s_mov_b32 s2, 0
                                        ; implicit-def: $sgpr12
                                        ; implicit-def: $vgpr0_vgpr1
                                        ; implicit-def: $vgpr12_vgpr13
.LBB6_1707:
	s_andn2_b32 s1, s7, exec_lo
	s_and_b32 s3, s4, exec_lo
	s_and_b32 s0, s0, exec_lo
	;; [unrolled: 1-line block ×3, first 2 shown]
	s_or_b32 s7, s1, s3
.LBB6_1708:
	s_or_b32 exec_lo, exec_lo, s6
	s_and_saveexec_b32 s1, s7
	s_cbranch_execz .LBB6_1711
; %bb.1709:
	; divergent unreachable
	s_or_b32 exec_lo, exec_lo, s1
	s_and_saveexec_b32 s1, s4
	s_xor_b32 s1, exec_lo, s1
	s_cbranch_execnz .LBB6_1712
.LBB6_1710:
	s_or_b32 exec_lo, exec_lo, s1
	s_and_saveexec_b32 s1, s0
	s_cbranch_execnz .LBB6_1713
	s_branch .LBB6_1750
.LBB6_1711:
	s_or_b32 exec_lo, exec_lo, s1
	s_and_saveexec_b32 s1, s4
	s_xor_b32 s1, exec_lo, s1
	s_cbranch_execz .LBB6_1710
.LBB6_1712:
	v_cmp_neq_f64_e32 vcc_lo, 0, v[12:13]
	s_waitcnt vmcnt(0)
	v_cndmask_b32_e64 v2, 0, 1, vcc_lo
	global_store_byte v[0:1], v2, off
	s_or_b32 exec_lo, exec_lo, s1
	s_and_saveexec_b32 s1, s0
	s_cbranch_execz .LBB6_1750
.LBB6_1713:
	s_sext_i32_i16 s1, s12
	s_mov_b32 s0, -1
	s_cmp_lt_i32 s1, 5
	s_cbranch_scc1 .LBB6_1734
; %bb.1714:
	s_cmp_lt_i32 s1, 8
	s_cbranch_scc1 .LBB6_1724
; %bb.1715:
	s_cmp_lt_i32 s1, 9
	s_cbranch_scc1 .LBB6_1721
; %bb.1716:
	s_cmp_gt_i32 s1, 9
	s_cbranch_scc0 .LBB6_1718
; %bb.1717:
	v_mov_b32_e32 v14, 0
	s_mov_b32 s0, 0
	v_mov_b32_e32 v15, v14
	global_store_dwordx4 v[0:1], v[12:15], off
.LBB6_1718:
	s_andn2_b32 vcc_lo, exec_lo, s0
	s_cbranch_vccnz .LBB6_1720
; %bb.1719:
	s_waitcnt vmcnt(0)
	v_cvt_f32_f64_e32 v2, v[12:13]
	v_mov_b32_e32 v3, 0
	global_store_dwordx2 v[0:1], v[2:3], off
.LBB6_1720:
	s_mov_b32 s0, 0
.LBB6_1721:
	s_andn2_b32 vcc_lo, exec_lo, s0
	s_cbranch_vccnz .LBB6_1723
; %bb.1722:
	s_waitcnt vmcnt(0)
	v_and_or_b32 v2, 0x1ff, v13, v12
	v_lshrrev_b32_e32 v3, 8, v13
	v_bfe_u32 v4, v13, 20, 11
	v_cmp_ne_u32_e32 vcc_lo, 0, v2
	v_sub_nc_u32_e32 v5, 0x3f1, v4
	v_add_nc_u32_e32 v4, 0xfffffc10, v4
	v_cndmask_b32_e64 v2, 0, 1, vcc_lo
	v_and_or_b32 v2, 0xffe, v3, v2
	v_med3_i32 v3, v5, 0, 13
	v_or_b32_e32 v5, 0x1000, v2
	v_lshrrev_b32_e32 v6, v3, v5
	v_lshlrev_b32_e32 v3, v3, v6
	v_cmp_ne_u32_e32 vcc_lo, v3, v5
	v_lshl_or_b32 v5, v4, 12, v2
	v_cndmask_b32_e64 v3, 0, 1, vcc_lo
	v_cmp_gt_i32_e32 vcc_lo, 1, v4
	v_or_b32_e32 v3, v6, v3
	v_cndmask_b32_e32 v3, v5, v3, vcc_lo
	v_and_b32_e32 v5, 7, v3
	v_lshrrev_b32_e32 v3, 2, v3
	v_cmp_lt_i32_e32 vcc_lo, 5, v5
	v_cndmask_b32_e64 v6, 0, 1, vcc_lo
	v_cmp_eq_u32_e32 vcc_lo, 3, v5
	v_cndmask_b32_e64 v5, 0, 1, vcc_lo
	v_cmp_ne_u32_e32 vcc_lo, 0, v2
	v_or_b32_e32 v5, v5, v6
	v_mov_b32_e32 v6, 0x7e00
	v_add_nc_u32_e32 v3, v3, v5
	v_cndmask_b32_e32 v2, 0x7c00, v6, vcc_lo
	v_cmp_gt_i32_e32 vcc_lo, 31, v4
	v_cndmask_b32_e32 v3, 0x7c00, v3, vcc_lo
	v_cmp_eq_u32_e32 vcc_lo, 0x40f, v4
	v_cndmask_b32_e32 v2, v3, v2, vcc_lo
	v_lshrrev_b32_e32 v3, 16, v13
	v_and_or_b32 v2, 0x8000, v3, v2
	v_and_b32_e32 v2, 0xffff, v2
	global_store_dword v[0:1], v2, off
.LBB6_1723:
	s_mov_b32 s0, 0
.LBB6_1724:
	s_andn2_b32 vcc_lo, exec_lo, s0
	s_cbranch_vccnz .LBB6_1733
; %bb.1725:
	s_sext_i32_i16 s1, s12
	s_mov_b32 s0, -1
	s_cmp_lt_i32 s1, 6
	s_cbranch_scc1 .LBB6_1731
; %bb.1726:
	s_cmp_gt_i32 s1, 6
	s_cbranch_scc0 .LBB6_1728
; %bb.1727:
	s_mov_b32 s0, 0
	global_store_dwordx2 v[0:1], v[12:13], off
.LBB6_1728:
	s_andn2_b32 vcc_lo, exec_lo, s0
	s_cbranch_vccnz .LBB6_1730
; %bb.1729:
	s_waitcnt vmcnt(0)
	v_cvt_f32_f64_e32 v2, v[12:13]
	global_store_dword v[0:1], v2, off
.LBB6_1730:
	s_mov_b32 s0, 0
.LBB6_1731:
	s_andn2_b32 vcc_lo, exec_lo, s0
	s_cbranch_vccnz .LBB6_1733
; %bb.1732:
	s_waitcnt vmcnt(0)
	v_and_or_b32 v2, 0x1ff, v13, v12
	v_lshrrev_b32_e32 v3, 8, v13
	v_bfe_u32 v4, v13, 20, 11
	v_cmp_ne_u32_e32 vcc_lo, 0, v2
	v_sub_nc_u32_e32 v5, 0x3f1, v4
	v_add_nc_u32_e32 v4, 0xfffffc10, v4
	v_cndmask_b32_e64 v2, 0, 1, vcc_lo
	v_and_or_b32 v2, 0xffe, v3, v2
	v_med3_i32 v3, v5, 0, 13
	v_or_b32_e32 v5, 0x1000, v2
	v_lshrrev_b32_e32 v6, v3, v5
	v_lshlrev_b32_e32 v3, v3, v6
	v_cmp_ne_u32_e32 vcc_lo, v3, v5
	v_lshl_or_b32 v5, v4, 12, v2
	v_cndmask_b32_e64 v3, 0, 1, vcc_lo
	v_cmp_gt_i32_e32 vcc_lo, 1, v4
	v_or_b32_e32 v3, v6, v3
	v_cndmask_b32_e32 v3, v5, v3, vcc_lo
	v_and_b32_e32 v5, 7, v3
	v_lshrrev_b32_e32 v3, 2, v3
	v_cmp_lt_i32_e32 vcc_lo, 5, v5
	v_cndmask_b32_e64 v6, 0, 1, vcc_lo
	v_cmp_eq_u32_e32 vcc_lo, 3, v5
	v_cndmask_b32_e64 v5, 0, 1, vcc_lo
	v_cmp_ne_u32_e32 vcc_lo, 0, v2
	v_or_b32_e32 v5, v5, v6
	v_mov_b32_e32 v6, 0x7e00
	v_add_nc_u32_e32 v3, v3, v5
	v_cndmask_b32_e32 v2, 0x7c00, v6, vcc_lo
	v_cmp_gt_i32_e32 vcc_lo, 31, v4
	v_cndmask_b32_e32 v3, 0x7c00, v3, vcc_lo
	v_cmp_eq_u32_e32 vcc_lo, 0x40f, v4
	v_cndmask_b32_e32 v2, v3, v2, vcc_lo
	v_lshrrev_b32_e32 v3, 16, v13
	v_and_or_b32 v2, 0x8000, v3, v2
	global_store_short v[0:1], v2, off
.LBB6_1733:
	s_mov_b32 s0, 0
.LBB6_1734:
	s_andn2_b32 vcc_lo, exec_lo, s0
	s_cbranch_vccnz .LBB6_1750
; %bb.1735:
	s_sext_i32_i16 s1, s12
	s_mov_b32 s0, -1
	s_cmp_lt_i32 s1, 2
	s_cbranch_scc1 .LBB6_1745
; %bb.1736:
	s_cmp_lt_i32 s1, 3
	s_cbranch_scc1 .LBB6_1742
; %bb.1737:
	s_cmp_gt_i32 s1, 3
	s_cbranch_scc0 .LBB6_1739
; %bb.1738:
	s_waitcnt vmcnt(0)
	v_trunc_f64_e32 v[2:3], v[12:13]
	s_mov_b32 s0, 0
	v_ldexp_f64 v[4:5], v[2:3], 0xffffffe0
	v_floor_f64_e32 v[4:5], v[4:5]
	v_fma_f64 v[2:3], 0xc1f00000, v[4:5], v[2:3]
	v_cvt_i32_f64_e32 v4, v[4:5]
	v_cvt_u32_f64_e32 v3, v[2:3]
	global_store_dwordx2 v[0:1], v[3:4], off
.LBB6_1739:
	s_andn2_b32 vcc_lo, exec_lo, s0
	s_cbranch_vccnz .LBB6_1741
; %bb.1740:
	s_waitcnt vmcnt(0)
	v_cvt_i32_f64_e32 v2, v[12:13]
	global_store_dword v[0:1], v2, off
.LBB6_1741:
	s_mov_b32 s0, 0
.LBB6_1742:
	s_andn2_b32 vcc_lo, exec_lo, s0
	s_cbranch_vccnz .LBB6_1744
; %bb.1743:
	s_waitcnt vmcnt(0)
	v_cvt_i32_f64_e32 v2, v[12:13]
	global_store_short v[0:1], v2, off
.LBB6_1744:
	s_mov_b32 s0, 0
.LBB6_1745:
	s_andn2_b32 vcc_lo, exec_lo, s0
	s_cbranch_vccnz .LBB6_1750
; %bb.1746:
	s_sext_i32_i16 s0, s12
	s_cmp_gt_i32 s0, 0
	s_mov_b32 s0, -1
	s_cbranch_scc0 .LBB6_1748
; %bb.1747:
	s_waitcnt vmcnt(0)
	v_cvt_i32_f64_e32 v2, v[12:13]
	s_mov_b32 s0, 0
	global_store_byte v[0:1], v2, off
.LBB6_1748:
	s_andn2_b32 vcc_lo, exec_lo, s0
	s_cbranch_vccnz .LBB6_1750
; %bb.1749:
	s_waitcnt vmcnt(0)
	v_trunc_f64_e32 v[2:3], v[12:13]
	v_ldexp_f64 v[4:5], v[2:3], 0xffffffe0
	v_floor_f64_e32 v[4:5], v[4:5]
	v_fma_f64 v[2:3], 0xc1f00000, v[4:5], v[2:3]
	v_cvt_u32_f64_e32 v2, v[2:3]
	global_store_byte v[0:1], v2, off
	s_endpgm
.LBB6_1750:
	s_endpgm
.LBB6_1751:
	s_mov_b32 s0, -1
	s_mov_b32 s5, 0
.LBB6_1752:
	s_and_b32 vcc_lo, exec_lo, s0
	s_cbranch_vccz .LBB6_1791
; %bb.1753:
	s_and_b32 s0, 0xffff, s12
	s_mov_b32 s1, -1
	s_cmp_lt_i32 s0, 5
	s_cbranch_scc1 .LBB6_1774
; %bb.1754:
	s_cmp_lt_i32 s0, 8
	s_cbranch_scc1 .LBB6_1764
; %bb.1755:
	;; [unrolled: 3-line block ×3, first 2 shown]
	s_cmp_gt_i32 s0, 9
	s_cbranch_scc0 .LBB6_1758
; %bb.1757:
	v_mov_b32_e32 v2, 0
	s_mov_b32 s1, 0
	v_mov_b32_e32 v3, v2
	global_store_dwordx4 v[6:7], v[0:3], off
.LBB6_1758:
	s_andn2_b32 vcc_lo, exec_lo, s1
	s_cbranch_vccnz .LBB6_1760
; %bb.1759:
	v_cvt_f32_f64_e32 v2, v[0:1]
	v_mov_b32_e32 v3, 0
	global_store_dwordx2 v[6:7], v[2:3], off
.LBB6_1760:
	s_mov_b32 s1, 0
.LBB6_1761:
	s_andn2_b32 vcc_lo, exec_lo, s1
	s_cbranch_vccnz .LBB6_1763
; %bb.1762:
	v_and_or_b32 v2, 0x1ff, v1, v0
	v_lshrrev_b32_e32 v3, 8, v1
	v_bfe_u32 v11, v1, 20, 11
	v_cmp_ne_u32_e32 vcc_lo, 0, v2
	v_sub_nc_u32_e32 v14, 0x3f1, v11
	v_add_nc_u32_e32 v11, 0xfffffc10, v11
	v_cndmask_b32_e64 v2, 0, 1, vcc_lo
	v_and_or_b32 v2, 0xffe, v3, v2
	v_med3_i32 v3, v14, 0, 13
	v_or_b32_e32 v14, 0x1000, v2
	v_lshrrev_b32_e32 v15, v3, v14
	v_lshlrev_b32_e32 v3, v3, v15
	v_cmp_ne_u32_e32 vcc_lo, v3, v14
	v_lshl_or_b32 v14, v11, 12, v2
	v_cndmask_b32_e64 v3, 0, 1, vcc_lo
	v_cmp_gt_i32_e32 vcc_lo, 1, v11
	v_or_b32_e32 v3, v15, v3
	v_cndmask_b32_e32 v3, v14, v3, vcc_lo
	v_and_b32_e32 v14, 7, v3
	v_lshrrev_b32_e32 v3, 2, v3
	v_cmp_lt_i32_e32 vcc_lo, 5, v14
	v_cndmask_b32_e64 v15, 0, 1, vcc_lo
	v_cmp_eq_u32_e32 vcc_lo, 3, v14
	v_cndmask_b32_e64 v14, 0, 1, vcc_lo
	v_cmp_ne_u32_e32 vcc_lo, 0, v2
	v_or_b32_e32 v14, v14, v15
	v_mov_b32_e32 v15, 0x7e00
	v_add_nc_u32_e32 v3, v3, v14
	v_cndmask_b32_e32 v2, 0x7c00, v15, vcc_lo
	v_cmp_gt_i32_e32 vcc_lo, 31, v11
	v_cndmask_b32_e32 v3, 0x7c00, v3, vcc_lo
	v_cmp_eq_u32_e32 vcc_lo, 0x40f, v11
	v_cndmask_b32_e32 v2, v3, v2, vcc_lo
	v_lshrrev_b32_e32 v3, 16, v1
	v_and_or_b32 v2, 0x8000, v3, v2
	v_and_b32_e32 v2, 0xffff, v2
	global_store_dword v[6:7], v2, off
.LBB6_1763:
	s_mov_b32 s1, 0
.LBB6_1764:
	s_andn2_b32 vcc_lo, exec_lo, s1
	s_cbranch_vccnz .LBB6_1773
; %bb.1765:
	s_cmp_lt_i32 s0, 6
	s_mov_b32 s1, -1
	s_cbranch_scc1 .LBB6_1771
; %bb.1766:
	s_cmp_gt_i32 s0, 6
	s_cbranch_scc0 .LBB6_1768
; %bb.1767:
	s_mov_b32 s1, 0
	global_store_dwordx2 v[6:7], v[0:1], off
.LBB6_1768:
	s_andn2_b32 vcc_lo, exec_lo, s1
	s_cbranch_vccnz .LBB6_1770
; %bb.1769:
	v_cvt_f32_f64_e32 v2, v[0:1]
	global_store_dword v[6:7], v2, off
.LBB6_1770:
	s_mov_b32 s1, 0
.LBB6_1771:
	s_andn2_b32 vcc_lo, exec_lo, s1
	s_cbranch_vccnz .LBB6_1773
; %bb.1772:
	v_and_or_b32 v2, 0x1ff, v1, v0
	v_lshrrev_b32_e32 v3, 8, v1
	v_bfe_u32 v11, v1, 20, 11
	v_cmp_ne_u32_e32 vcc_lo, 0, v2
	v_sub_nc_u32_e32 v14, 0x3f1, v11
	v_add_nc_u32_e32 v11, 0xfffffc10, v11
	v_cndmask_b32_e64 v2, 0, 1, vcc_lo
	v_and_or_b32 v2, 0xffe, v3, v2
	v_med3_i32 v3, v14, 0, 13
	v_or_b32_e32 v14, 0x1000, v2
	v_lshrrev_b32_e32 v15, v3, v14
	v_lshlrev_b32_e32 v3, v3, v15
	v_cmp_ne_u32_e32 vcc_lo, v3, v14
	v_lshl_or_b32 v14, v11, 12, v2
	v_cndmask_b32_e64 v3, 0, 1, vcc_lo
	v_cmp_gt_i32_e32 vcc_lo, 1, v11
	v_or_b32_e32 v3, v15, v3
	v_cndmask_b32_e32 v3, v14, v3, vcc_lo
	v_and_b32_e32 v14, 7, v3
	v_lshrrev_b32_e32 v3, 2, v3
	v_cmp_lt_i32_e32 vcc_lo, 5, v14
	v_cndmask_b32_e64 v15, 0, 1, vcc_lo
	v_cmp_eq_u32_e32 vcc_lo, 3, v14
	v_cndmask_b32_e64 v14, 0, 1, vcc_lo
	v_cmp_ne_u32_e32 vcc_lo, 0, v2
	v_or_b32_e32 v14, v14, v15
	v_mov_b32_e32 v15, 0x7e00
	v_add_nc_u32_e32 v3, v3, v14
	v_cndmask_b32_e32 v2, 0x7c00, v15, vcc_lo
	v_cmp_gt_i32_e32 vcc_lo, 31, v11
	v_cndmask_b32_e32 v3, 0x7c00, v3, vcc_lo
	v_cmp_eq_u32_e32 vcc_lo, 0x40f, v11
	v_cndmask_b32_e32 v2, v3, v2, vcc_lo
	v_lshrrev_b32_e32 v3, 16, v1
	v_and_or_b32 v2, 0x8000, v3, v2
	global_store_short v[6:7], v2, off
.LBB6_1773:
	s_mov_b32 s1, 0
.LBB6_1774:
	s_andn2_b32 vcc_lo, exec_lo, s1
	s_cbranch_vccnz .LBB6_1790
; %bb.1775:
	s_cmp_lt_i32 s0, 2
	s_mov_b32 s1, -1
	s_cbranch_scc1 .LBB6_1785
; %bb.1776:
	s_cmp_lt_i32 s0, 3
	s_cbranch_scc1 .LBB6_1782
; %bb.1777:
	s_cmp_gt_i32 s0, 3
	s_cbranch_scc0 .LBB6_1779
; %bb.1778:
	v_trunc_f64_e32 v[2:3], v[0:1]
	s_mov_b32 s1, 0
	v_ldexp_f64 v[14:15], v[2:3], 0xffffffe0
	v_floor_f64_e32 v[14:15], v[14:15]
	v_fma_f64 v[2:3], 0xc1f00000, v[14:15], v[2:3]
	v_cvt_i32_f64_e32 v15, v[14:15]
	v_cvt_u32_f64_e32 v14, v[2:3]
	global_store_dwordx2 v[6:7], v[14:15], off
.LBB6_1779:
	s_andn2_b32 vcc_lo, exec_lo, s1
	s_cbranch_vccnz .LBB6_1781
; %bb.1780:
	v_cvt_i32_f64_e32 v2, v[0:1]
	global_store_dword v[6:7], v2, off
.LBB6_1781:
	s_mov_b32 s1, 0
.LBB6_1782:
	s_andn2_b32 vcc_lo, exec_lo, s1
	s_cbranch_vccnz .LBB6_1784
; %bb.1783:
	v_cvt_i32_f64_e32 v2, v[0:1]
	global_store_short v[6:7], v2, off
.LBB6_1784:
	s_mov_b32 s1, 0
.LBB6_1785:
	s_andn2_b32 vcc_lo, exec_lo, s1
	s_cbranch_vccnz .LBB6_1790
; %bb.1786:
	s_cmp_gt_i32 s0, 0
	s_mov_b32 s0, -1
	s_cbranch_scc0 .LBB6_1788
; %bb.1787:
	v_cvt_i32_f64_e32 v2, v[0:1]
	s_mov_b32 s0, 0
	global_store_byte v[6:7], v2, off
.LBB6_1788:
	s_andn2_b32 vcc_lo, exec_lo, s0
	s_cbranch_vccnz .LBB6_1790
; %bb.1789:
	v_trunc_f64_e32 v[0:1], v[0:1]
	v_ldexp_f64 v[2:3], v[0:1], 0xffffffe0
	v_floor_f64_e32 v[2:3], v[2:3]
	v_fma_f64 v[0:1], 0xc1f00000, v[2:3], v[0:1]
	v_cvt_u32_f64_e32 v0, v[0:1]
	global_store_byte v[6:7], v0, off
.LBB6_1790:
	s_mov_b32 s5, -1
.LBB6_1791:
	s_andn2_b32 vcc_lo, exec_lo, s5
	s_cbranch_vccnz .LBB6_2106
; %bb.1792:
	s_lshl_b32 s1, s2, 7
	s_cmp_lt_i32 s12, 11
	v_add_nc_u32_e32 v2, s1, v10
	v_ashrrev_i32_e32 v1, 31, v2
	v_add_co_u32 v0, vcc_lo, s8, v2
	v_add_co_ci_u32_e64 v1, null, s9, v1, vcc_lo
	s_cbranch_scc1 .LBB6_1870
; %bb.1793:
	s_and_b32 s2, 0xffff, s12
	s_mov_b32 s10, -1
	s_mov_b32 s3, 0
	s_cmp_gt_i32 s2, 25
	s_mov_b32 s5, 0
	s_mov_b32 s0, 0
	s_cbranch_scc0 .LBB6_1826
; %bb.1794:
	s_cmp_gt_i32 s2, 28
	s_cbranch_scc0 .LBB6_1809
; %bb.1795:
	s_cmp_gt_i32 s2, 43
	;; [unrolled: 3-line block ×3, first 2 shown]
	s_cbranch_scc0 .LBB6_1799
; %bb.1797:
	s_mov_b32 s0, -1
	s_mov_b32 s10, 0
	s_cmp_eq_u32 s2, 46
	s_cbranch_scc0 .LBB6_1799
; %bb.1798:
	v_cvt_f32_f64_e32 v3, v[4:5]
	s_mov_b32 s0, 0
	s_mov_b32 s5, -1
	v_bfe_u32 v6, v3, 16, 1
	v_cmp_o_f32_e32 vcc_lo, v3, v3
	v_add3_u32 v3, v3, v6, 0x7fff
	v_mov_b32_e32 v6, 0x7fc0
	v_cndmask_b32_sdwa v3, v6, v3, vcc_lo dst_sel:DWORD dst_unused:UNUSED_PAD src0_sel:DWORD src1_sel:WORD_1
	global_store_dword v[0:1], v3, off
.LBB6_1799:
	s_and_b32 vcc_lo, exec_lo, s10
	s_cbranch_vccz .LBB6_1804
; %bb.1800:
	s_cmp_eq_u32 s2, 44
	s_mov_b32 s0, -1
	s_cbranch_scc0 .LBB6_1804
; %bb.1801:
	v_cvt_f32_f64_e32 v3, v[4:5]
	v_mov_b32_e32 v6, 0xff
	s_mov_b32 s5, exec_lo
	v_bfe_u32 v7, v3, 23, 8
	v_cmpx_ne_u32_e32 0xff, v7
	s_cbranch_execz .LBB6_1803
; %bb.1802:
	v_and_b32_e32 v6, 0x400000, v3
	v_and_or_b32 v7, 0x3fffff, v3, v7
	v_lshrrev_b32_e32 v3, 23, v3
	v_cmp_ne_u32_e32 vcc_lo, 0, v6
	v_cmp_ne_u32_e64 s0, 0, v7
	s_and_b32 s0, vcc_lo, s0
	v_cndmask_b32_e64 v6, 0, 1, s0
	v_add_nc_u32_e32 v6, v3, v6
.LBB6_1803:
	s_or_b32 exec_lo, exec_lo, s5
	s_mov_b32 s0, 0
	s_mov_b32 s5, -1
	global_store_byte v[0:1], v6, off
.LBB6_1804:
	s_mov_b32 s10, 0
.LBB6_1805:
	s_and_b32 vcc_lo, exec_lo, s10
	s_cbranch_vccz .LBB6_1808
; %bb.1806:
	s_cmp_eq_u32 s2, 29
	s_mov_b32 s0, -1
	s_cbranch_scc0 .LBB6_1808
; %bb.1807:
	v_trunc_f64_e32 v[6:7], v[4:5]
	s_mov_b32 s0, 0
	s_mov_b32 s5, -1
	v_ldexp_f64 v[10:11], v[6:7], 0xffffffe0
	v_floor_f64_e32 v[10:11], v[10:11]
	v_fma_f64 v[6:7], 0xc1f00000, v[10:11], v[6:7]
	v_cvt_u32_f64_e32 v11, v[10:11]
	v_cvt_u32_f64_e32 v10, v[6:7]
	global_store_dwordx2 v[0:1], v[10:11], off
.LBB6_1808:
	s_mov_b32 s10, 0
.LBB6_1809:
	s_and_b32 vcc_lo, exec_lo, s10
	s_cbranch_vccz .LBB6_1825
; %bb.1810:
	s_cmp_lt_i32 s2, 27
	s_mov_b32 s5, -1
	s_cbranch_scc1 .LBB6_1816
; %bb.1811:
	v_cvt_u32_f64_e32 v3, v[4:5]
	s_cmp_gt_i32 s2, 27
	s_cbranch_scc0 .LBB6_1813
; %bb.1812:
	s_mov_b32 s5, 0
	global_store_dword v[0:1], v3, off
.LBB6_1813:
	s_andn2_b32 vcc_lo, exec_lo, s5
	s_cbranch_vccnz .LBB6_1815
; %bb.1814:
	global_store_short v[0:1], v3, off
.LBB6_1815:
	s_mov_b32 s5, 0
.LBB6_1816:
	s_andn2_b32 vcc_lo, exec_lo, s5
	s_cbranch_vccnz .LBB6_1824
; %bb.1817:
	v_cvt_f32_f64_e32 v3, v[4:5]
	v_mov_b32_e32 v7, 0x80
	s_mov_b32 s5, exec_lo
	v_and_b32_e32 v6, 0x7fffffff, v3
	v_cmpx_gt_u32_e32 0x43800000, v6
	s_cbranch_execz .LBB6_1823
; %bb.1818:
	v_cmp_lt_u32_e32 vcc_lo, 0x3bffffff, v6
	s_mov_b32 s10, 0
                                        ; implicit-def: $vgpr6
	s_and_saveexec_b32 s11, vcc_lo
	s_xor_b32 s11, exec_lo, s11
	s_cbranch_execz .LBB6_2114
; %bb.1819:
	v_bfe_u32 v6, v3, 20, 1
	s_mov_b32 s10, exec_lo
	v_add3_u32 v6, v3, v6, 0x487ffff
	v_lshrrev_b32_e32 v6, 20, v6
	s_andn2_saveexec_b32 s11, s11
	s_cbranch_execnz .LBB6_2115
.LBB6_1820:
	s_or_b32 exec_lo, exec_lo, s11
	v_mov_b32_e32 v7, 0
	s_and_saveexec_b32 s11, s10
.LBB6_1821:
	v_lshrrev_b32_e32 v3, 24, v3
	v_and_or_b32 v7, 0x80, v3, v6
.LBB6_1822:
	s_or_b32 exec_lo, exec_lo, s11
.LBB6_1823:
	s_or_b32 exec_lo, exec_lo, s5
	global_store_byte v[0:1], v7, off
.LBB6_1824:
	s_mov_b32 s5, -1
.LBB6_1825:
	s_mov_b32 s10, 0
.LBB6_1826:
	s_and_b32 vcc_lo, exec_lo, s10
	s_cbranch_vccz .LBB6_1866
; %bb.1827:
	s_cmp_gt_i32 s2, 22
	s_mov_b32 s3, -1
	s_cbranch_scc0 .LBB6_1859
; %bb.1828:
	s_cmp_lt_i32 s2, 24
	s_cbranch_scc1 .LBB6_1848
; %bb.1829:
	s_cmp_gt_i32 s2, 24
	s_cbranch_scc0 .LBB6_1837
; %bb.1830:
	v_cvt_f32_f64_e32 v3, v[4:5]
	v_mov_b32_e32 v7, 0x80
	s_mov_b32 s3, exec_lo
	v_and_b32_e32 v6, 0x7fffffff, v3
	v_cmpx_gt_u32_e32 0x47800000, v6
	s_cbranch_execz .LBB6_1836
; %bb.1831:
	v_cmp_lt_u32_e32 vcc_lo, 0x37ffffff, v6
	s_mov_b32 s5, 0
                                        ; implicit-def: $vgpr6
	s_and_saveexec_b32 s10, vcc_lo
	s_xor_b32 s10, exec_lo, s10
	s_cbranch_execz .LBB6_2117
; %bb.1832:
	v_bfe_u32 v6, v3, 21, 1
	s_mov_b32 s5, exec_lo
	v_add3_u32 v6, v3, v6, 0x88fffff
	v_lshrrev_b32_e32 v6, 21, v6
	s_andn2_saveexec_b32 s10, s10
	s_cbranch_execnz .LBB6_2118
.LBB6_1833:
	s_or_b32 exec_lo, exec_lo, s10
	v_mov_b32_e32 v7, 0
	s_and_saveexec_b32 s10, s5
.LBB6_1834:
	v_lshrrev_b32_e32 v3, 24, v3
	v_and_or_b32 v7, 0x80, v3, v6
.LBB6_1835:
	s_or_b32 exec_lo, exec_lo, s10
.LBB6_1836:
	s_or_b32 exec_lo, exec_lo, s3
	s_mov_b32 s3, 0
	global_store_byte v[0:1], v7, off
.LBB6_1837:
	s_and_b32 vcc_lo, exec_lo, s3
	s_cbranch_vccz .LBB6_1847
; %bb.1838:
	v_cvt_f32_f64_e32 v3, v[4:5]
	s_mov_b32 s3, exec_lo
                                        ; implicit-def: $vgpr6
	v_and_b32_e32 v7, 0x7fffffff, v3
	v_cmpx_gt_u32_e32 0x43f00000, v7
	s_xor_b32 s3, exec_lo, s3
	s_cbranch_execz .LBB6_1844
; %bb.1839:
	s_mov_b32 s5, exec_lo
                                        ; implicit-def: $vgpr6
	v_cmpx_lt_u32_e32 0x3c7fffff, v7
	s_xor_b32 s5, exec_lo, s5
; %bb.1840:
	v_bfe_u32 v6, v3, 20, 1
	v_add3_u32 v6, v3, v6, 0x407ffff
	v_and_b32_e32 v7, 0xff00000, v6
	v_lshrrev_b32_e32 v6, 20, v6
	v_cmp_ne_u32_e32 vcc_lo, 0x7f00000, v7
	v_cndmask_b32_e32 v6, 0x7e, v6, vcc_lo
; %bb.1841:
	s_andn2_saveexec_b32 s5, s5
; %bb.1842:
	v_add_f32_e64 v6, 0x46800000, |v3|
; %bb.1843:
	s_or_b32 exec_lo, exec_lo, s5
                                        ; implicit-def: $vgpr7
.LBB6_1844:
	s_andn2_saveexec_b32 s3, s3
; %bb.1845:
	v_mov_b32_e32 v6, 0x7f
	v_cmp_lt_u32_e32 vcc_lo, 0x7f800000, v7
	v_cndmask_b32_e32 v6, 0x7e, v6, vcc_lo
; %bb.1846:
	s_or_b32 exec_lo, exec_lo, s3
	v_lshrrev_b32_e32 v3, 24, v3
	v_and_or_b32 v3, 0x80, v3, v6
	global_store_byte v[0:1], v3, off
.LBB6_1847:
	s_mov_b32 s3, 0
.LBB6_1848:
	s_andn2_b32 vcc_lo, exec_lo, s3
	s_cbranch_vccnz .LBB6_1858
; %bb.1849:
	v_cvt_f32_f64_e32 v3, v[4:5]
	s_mov_b32 s3, exec_lo
                                        ; implicit-def: $vgpr6
	v_and_b32_e32 v7, 0x7fffffff, v3
	v_cmpx_gt_u32_e32 0x47800000, v7
	s_xor_b32 s3, exec_lo, s3
	s_cbranch_execz .LBB6_1855
; %bb.1850:
	s_mov_b32 s5, exec_lo
                                        ; implicit-def: $vgpr6
	v_cmpx_lt_u32_e32 0x387fffff, v7
	s_xor_b32 s5, exec_lo, s5
; %bb.1851:
	v_bfe_u32 v6, v3, 21, 1
	v_add3_u32 v6, v3, v6, 0x80fffff
	v_lshrrev_b32_e32 v6, 21, v6
; %bb.1852:
	s_andn2_saveexec_b32 s5, s5
; %bb.1853:
	v_add_f32_e64 v6, 0x43000000, |v3|
; %bb.1854:
	s_or_b32 exec_lo, exec_lo, s5
                                        ; implicit-def: $vgpr7
.LBB6_1855:
	s_andn2_saveexec_b32 s3, s3
; %bb.1856:
	v_mov_b32_e32 v6, 0x7f
	v_cmp_lt_u32_e32 vcc_lo, 0x7f800000, v7
	v_cndmask_b32_e32 v6, 0x7c, v6, vcc_lo
; %bb.1857:
	s_or_b32 exec_lo, exec_lo, s3
	v_lshrrev_b32_e32 v3, 24, v3
	v_and_or_b32 v3, 0x80, v3, v6
	global_store_byte v[0:1], v3, off
.LBB6_1858:
	s_mov_b32 s3, 0
	s_mov_b32 s5, -1
.LBB6_1859:
	s_andn2_b32 vcc_lo, exec_lo, s3
	s_mov_b32 s3, 0
	s_cbranch_vccnz .LBB6_1866
; %bb.1860:
	s_cmp_gt_i32 s2, 14
	s_mov_b32 s3, -1
	s_cbranch_scc0 .LBB6_1864
; %bb.1861:
	s_cmp_eq_u32 s2, 15
	s_mov_b32 s0, -1
	s_cbranch_scc0 .LBB6_1863
; %bb.1862:
	v_cvt_f32_f64_e32 v3, v[4:5]
	s_mov_b32 s0, 0
	s_mov_b32 s5, -1
	v_bfe_u32 v6, v3, 16, 1
	v_cmp_o_f32_e32 vcc_lo, v3, v3
	v_add3_u32 v3, v3, v6, 0x7fff
	v_mov_b32_e32 v6, 0x7fc0
	v_cndmask_b32_sdwa v3, v6, v3, vcc_lo dst_sel:DWORD dst_unused:UNUSED_PAD src0_sel:DWORD src1_sel:WORD_1
	global_store_short v[0:1], v3, off
.LBB6_1863:
	s_mov_b32 s3, 0
.LBB6_1864:
	s_and_b32 vcc_lo, exec_lo, s3
	s_mov_b32 s3, 0
	s_cbranch_vccz .LBB6_1866
; %bb.1865:
	s_cmp_lg_u32 s2, 11
	s_mov_b32 s3, -1
	s_cselect_b32 s0, -1, 0
.LBB6_1866:
	s_and_b32 vcc_lo, exec_lo, s0
	s_cbranch_vccnz .LBB6_2116
; %bb.1867:
	s_andn2_b32 vcc_lo, exec_lo, s3
	s_cbranch_vccnz .LBB6_1869
.LBB6_1868:
	v_cmp_neq_f64_e32 vcc_lo, 0, v[4:5]
	s_mov_b32 s5, -1
	v_cndmask_b32_e64 v3, 0, 1, vcc_lo
	global_store_byte v[0:1], v3, off
.LBB6_1869:
	s_mov_b32 s0, 0
	s_branch .LBB6_1871
.LBB6_1870:
	s_mov_b32 s0, -1
	s_mov_b32 s5, 0
.LBB6_1871:
	s_and_b32 vcc_lo, exec_lo, s0
	s_cbranch_vccz .LBB6_1910
; %bb.1872:
	s_and_b32 s0, 0xffff, s12
	s_mov_b32 s2, -1
	s_cmp_lt_i32 s0, 5
	s_cbranch_scc1 .LBB6_1893
; %bb.1873:
	s_cmp_lt_i32 s0, 8
	s_cbranch_scc1 .LBB6_1883
; %bb.1874:
	;; [unrolled: 3-line block ×3, first 2 shown]
	s_cmp_gt_i32 s0, 9
	s_cbranch_scc0 .LBB6_1877
; %bb.1876:
	v_mov_b32_e32 v6, 0
	s_mov_b32 s2, 0
	v_mov_b32_e32 v7, v6
	global_store_dwordx4 v[0:1], v[4:7], off
.LBB6_1877:
	s_andn2_b32 vcc_lo, exec_lo, s2
	s_cbranch_vccnz .LBB6_1879
; %bb.1878:
	v_cvt_f32_f64_e32 v6, v[4:5]
	v_mov_b32_e32 v7, 0
	global_store_dwordx2 v[0:1], v[6:7], off
.LBB6_1879:
	s_mov_b32 s2, 0
.LBB6_1880:
	s_andn2_b32 vcc_lo, exec_lo, s2
	s_cbranch_vccnz .LBB6_1882
; %bb.1881:
	v_and_or_b32 v3, 0x1ff, v5, v4
	v_lshrrev_b32_e32 v6, 8, v5
	v_bfe_u32 v7, v5, 20, 11
	v_cmp_ne_u32_e32 vcc_lo, 0, v3
	v_sub_nc_u32_e32 v10, 0x3f1, v7
	v_add_nc_u32_e32 v7, 0xfffffc10, v7
	v_cndmask_b32_e64 v3, 0, 1, vcc_lo
	v_and_or_b32 v3, 0xffe, v6, v3
	v_med3_i32 v6, v10, 0, 13
	v_or_b32_e32 v10, 0x1000, v3
	v_lshrrev_b32_e32 v11, v6, v10
	v_lshlrev_b32_e32 v6, v6, v11
	v_cmp_ne_u32_e32 vcc_lo, v6, v10
	v_lshl_or_b32 v10, v7, 12, v3
	v_cndmask_b32_e64 v6, 0, 1, vcc_lo
	v_cmp_gt_i32_e32 vcc_lo, 1, v7
	v_or_b32_e32 v6, v11, v6
	v_cndmask_b32_e32 v6, v10, v6, vcc_lo
	v_and_b32_e32 v10, 7, v6
	v_lshrrev_b32_e32 v6, 2, v6
	v_cmp_lt_i32_e32 vcc_lo, 5, v10
	v_cndmask_b32_e64 v11, 0, 1, vcc_lo
	v_cmp_eq_u32_e32 vcc_lo, 3, v10
	v_cndmask_b32_e64 v10, 0, 1, vcc_lo
	v_cmp_ne_u32_e32 vcc_lo, 0, v3
	v_or_b32_e32 v10, v10, v11
	v_mov_b32_e32 v11, 0x7e00
	v_add_nc_u32_e32 v6, v6, v10
	v_cndmask_b32_e32 v3, 0x7c00, v11, vcc_lo
	v_cmp_gt_i32_e32 vcc_lo, 31, v7
	v_cndmask_b32_e32 v6, 0x7c00, v6, vcc_lo
	v_cmp_eq_u32_e32 vcc_lo, 0x40f, v7
	v_cndmask_b32_e32 v3, v6, v3, vcc_lo
	v_lshrrev_b32_e32 v6, 16, v5
	v_and_or_b32 v3, 0x8000, v6, v3
	v_and_b32_e32 v3, 0xffff, v3
	global_store_dword v[0:1], v3, off
.LBB6_1882:
	s_mov_b32 s2, 0
.LBB6_1883:
	s_andn2_b32 vcc_lo, exec_lo, s2
	s_cbranch_vccnz .LBB6_1892
; %bb.1884:
	s_cmp_lt_i32 s0, 6
	s_mov_b32 s2, -1
	s_cbranch_scc1 .LBB6_1890
; %bb.1885:
	s_cmp_gt_i32 s0, 6
	s_cbranch_scc0 .LBB6_1887
; %bb.1886:
	s_mov_b32 s2, 0
	global_store_dwordx2 v[0:1], v[4:5], off
.LBB6_1887:
	s_andn2_b32 vcc_lo, exec_lo, s2
	s_cbranch_vccnz .LBB6_1889
; %bb.1888:
	v_cvt_f32_f64_e32 v3, v[4:5]
	global_store_dword v[0:1], v3, off
.LBB6_1889:
	s_mov_b32 s2, 0
.LBB6_1890:
	s_andn2_b32 vcc_lo, exec_lo, s2
	s_cbranch_vccnz .LBB6_1892
; %bb.1891:
	v_and_or_b32 v3, 0x1ff, v5, v4
	v_lshrrev_b32_e32 v6, 8, v5
	v_bfe_u32 v7, v5, 20, 11
	v_cmp_ne_u32_e32 vcc_lo, 0, v3
	v_sub_nc_u32_e32 v10, 0x3f1, v7
	v_add_nc_u32_e32 v7, 0xfffffc10, v7
	v_cndmask_b32_e64 v3, 0, 1, vcc_lo
	v_and_or_b32 v3, 0xffe, v6, v3
	v_med3_i32 v6, v10, 0, 13
	v_or_b32_e32 v10, 0x1000, v3
	v_lshrrev_b32_e32 v11, v6, v10
	v_lshlrev_b32_e32 v6, v6, v11
	v_cmp_ne_u32_e32 vcc_lo, v6, v10
	v_lshl_or_b32 v10, v7, 12, v3
	v_cndmask_b32_e64 v6, 0, 1, vcc_lo
	v_cmp_gt_i32_e32 vcc_lo, 1, v7
	v_or_b32_e32 v6, v11, v6
	v_cndmask_b32_e32 v6, v10, v6, vcc_lo
	v_and_b32_e32 v10, 7, v6
	v_lshrrev_b32_e32 v6, 2, v6
	v_cmp_lt_i32_e32 vcc_lo, 5, v10
	v_cndmask_b32_e64 v11, 0, 1, vcc_lo
	v_cmp_eq_u32_e32 vcc_lo, 3, v10
	v_cndmask_b32_e64 v10, 0, 1, vcc_lo
	v_cmp_ne_u32_e32 vcc_lo, 0, v3
	v_or_b32_e32 v10, v10, v11
	v_mov_b32_e32 v11, 0x7e00
	v_add_nc_u32_e32 v6, v6, v10
	v_cndmask_b32_e32 v3, 0x7c00, v11, vcc_lo
	v_cmp_gt_i32_e32 vcc_lo, 31, v7
	v_cndmask_b32_e32 v6, 0x7c00, v6, vcc_lo
	v_cmp_eq_u32_e32 vcc_lo, 0x40f, v7
	v_cndmask_b32_e32 v3, v6, v3, vcc_lo
	v_lshrrev_b32_e32 v6, 16, v5
	v_and_or_b32 v3, 0x8000, v6, v3
	global_store_short v[0:1], v3, off
.LBB6_1892:
	s_mov_b32 s2, 0
.LBB6_1893:
	s_andn2_b32 vcc_lo, exec_lo, s2
	s_cbranch_vccnz .LBB6_1909
; %bb.1894:
	s_cmp_lt_i32 s0, 2
	s_mov_b32 s2, -1
	s_cbranch_scc1 .LBB6_1904
; %bb.1895:
	s_cmp_lt_i32 s0, 3
	s_cbranch_scc1 .LBB6_1901
; %bb.1896:
	s_cmp_gt_i32 s0, 3
	s_cbranch_scc0 .LBB6_1898
; %bb.1897:
	v_trunc_f64_e32 v[6:7], v[4:5]
	s_mov_b32 s2, 0
	v_ldexp_f64 v[10:11], v[6:7], 0xffffffe0
	v_floor_f64_e32 v[10:11], v[10:11]
	v_fma_f64 v[6:7], 0xc1f00000, v[10:11], v[6:7]
	v_cvt_i32_f64_e32 v11, v[10:11]
	v_cvt_u32_f64_e32 v10, v[6:7]
	global_store_dwordx2 v[0:1], v[10:11], off
.LBB6_1898:
	s_andn2_b32 vcc_lo, exec_lo, s2
	s_cbranch_vccnz .LBB6_1900
; %bb.1899:
	v_cvt_i32_f64_e32 v3, v[4:5]
	global_store_dword v[0:1], v3, off
.LBB6_1900:
	s_mov_b32 s2, 0
.LBB6_1901:
	s_andn2_b32 vcc_lo, exec_lo, s2
	s_cbranch_vccnz .LBB6_1903
; %bb.1902:
	v_cvt_i32_f64_e32 v3, v[4:5]
	global_store_short v[0:1], v3, off
.LBB6_1903:
	s_mov_b32 s2, 0
.LBB6_1904:
	s_andn2_b32 vcc_lo, exec_lo, s2
	s_cbranch_vccnz .LBB6_1909
; %bb.1905:
	s_cmp_gt_i32 s0, 0
	s_mov_b32 s0, -1
	s_cbranch_scc0 .LBB6_1907
; %bb.1906:
	v_cvt_i32_f64_e32 v3, v[4:5]
	s_mov_b32 s0, 0
	global_store_byte v[0:1], v3, off
.LBB6_1907:
	s_andn2_b32 vcc_lo, exec_lo, s0
	s_cbranch_vccnz .LBB6_1909
; %bb.1908:
	v_trunc_f64_e32 v[3:4], v[4:5]
	v_ldexp_f64 v[5:6], v[3:4], 0xffffffe0
	v_floor_f64_e32 v[5:6], v[5:6]
	v_fma_f64 v[3:4], 0xc1f00000, v[5:6], v[3:4]
	v_cvt_u32_f64_e32 v3, v[3:4]
	global_store_byte v[0:1], v3, off
.LBB6_1909:
	s_mov_b32 s5, -1
.LBB6_1910:
	s_andn2_b32 vcc_lo, exec_lo, s5
	s_cbranch_vccnz .LBB6_2106
; %bb.1911:
	v_add_nc_u32_e32 v2, s1, v2
	s_cmp_lt_i32 s12, 11
	v_ashrrev_i32_e32 v1, 31, v2
	v_add_co_u32 v0, vcc_lo, s8, v2
	v_add_co_ci_u32_e64 v1, null, s9, v1, vcc_lo
	s_cbranch_scc1 .LBB6_1989
; %bb.1912:
	s_and_b32 s2, 0xffff, s12
	s_mov_b32 s10, -1
	s_mov_b32 s3, 0
	s_cmp_gt_i32 s2, 25
	s_mov_b32 s5, 0
	s_mov_b32 s0, 0
	s_cbranch_scc0 .LBB6_1945
; %bb.1913:
	s_cmp_gt_i32 s2, 28
	s_cbranch_scc0 .LBB6_1928
; %bb.1914:
	s_cmp_gt_i32 s2, 43
	;; [unrolled: 3-line block ×3, first 2 shown]
	s_cbranch_scc0 .LBB6_1918
; %bb.1916:
	s_mov_b32 s0, -1
	s_mov_b32 s10, 0
	s_cmp_eq_u32 s2, 46
	s_cbranch_scc0 .LBB6_1918
; %bb.1917:
	v_cvt_f32_f64_e32 v3, v[8:9]
	s_mov_b32 s0, 0
	s_mov_b32 s5, -1
	v_bfe_u32 v4, v3, 16, 1
	v_cmp_o_f32_e32 vcc_lo, v3, v3
	v_add3_u32 v3, v3, v4, 0x7fff
	v_mov_b32_e32 v4, 0x7fc0
	v_cndmask_b32_sdwa v3, v4, v3, vcc_lo dst_sel:DWORD dst_unused:UNUSED_PAD src0_sel:DWORD src1_sel:WORD_1
	global_store_dword v[0:1], v3, off
.LBB6_1918:
	s_and_b32 vcc_lo, exec_lo, s10
	s_cbranch_vccz .LBB6_1923
; %bb.1919:
	s_cmp_eq_u32 s2, 44
	s_mov_b32 s0, -1
	s_cbranch_scc0 .LBB6_1923
; %bb.1920:
	v_cvt_f32_f64_e32 v3, v[8:9]
	v_mov_b32_e32 v4, 0xff
	s_mov_b32 s5, exec_lo
	v_bfe_u32 v5, v3, 23, 8
	v_cmpx_ne_u32_e32 0xff, v5
	s_cbranch_execz .LBB6_1922
; %bb.1921:
	v_and_b32_e32 v4, 0x400000, v3
	v_and_or_b32 v5, 0x3fffff, v3, v5
	v_lshrrev_b32_e32 v3, 23, v3
	v_cmp_ne_u32_e32 vcc_lo, 0, v4
	v_cmp_ne_u32_e64 s0, 0, v5
	s_and_b32 s0, vcc_lo, s0
	v_cndmask_b32_e64 v4, 0, 1, s0
	v_add_nc_u32_e32 v4, v3, v4
.LBB6_1922:
	s_or_b32 exec_lo, exec_lo, s5
	s_mov_b32 s0, 0
	s_mov_b32 s5, -1
	global_store_byte v[0:1], v4, off
.LBB6_1923:
	s_mov_b32 s10, 0
.LBB6_1924:
	s_and_b32 vcc_lo, exec_lo, s10
	s_cbranch_vccz .LBB6_1927
; %bb.1925:
	s_cmp_eq_u32 s2, 29
	s_mov_b32 s0, -1
	s_cbranch_scc0 .LBB6_1927
; %bb.1926:
	v_trunc_f64_e32 v[3:4], v[8:9]
	s_mov_b32 s0, 0
	s_mov_b32 s5, -1
	v_ldexp_f64 v[5:6], v[3:4], 0xffffffe0
	v_floor_f64_e32 v[5:6], v[5:6]
	v_fma_f64 v[3:4], 0xc1f00000, v[5:6], v[3:4]
	v_cvt_u32_f64_e32 v5, v[5:6]
	v_cvt_u32_f64_e32 v4, v[3:4]
	global_store_dwordx2 v[0:1], v[4:5], off
.LBB6_1927:
	s_mov_b32 s10, 0
.LBB6_1928:
	s_and_b32 vcc_lo, exec_lo, s10
	s_cbranch_vccz .LBB6_1944
; %bb.1929:
	s_cmp_lt_i32 s2, 27
	s_mov_b32 s5, -1
	s_cbranch_scc1 .LBB6_1935
; %bb.1930:
	v_cvt_u32_f64_e32 v3, v[8:9]
	s_cmp_gt_i32 s2, 27
	s_cbranch_scc0 .LBB6_1932
; %bb.1931:
	s_mov_b32 s5, 0
	global_store_dword v[0:1], v3, off
.LBB6_1932:
	s_andn2_b32 vcc_lo, exec_lo, s5
	s_cbranch_vccnz .LBB6_1934
; %bb.1933:
	global_store_short v[0:1], v3, off
.LBB6_1934:
	s_mov_b32 s5, 0
.LBB6_1935:
	s_andn2_b32 vcc_lo, exec_lo, s5
	s_cbranch_vccnz .LBB6_1943
; %bb.1936:
	v_cvt_f32_f64_e32 v3, v[8:9]
	v_mov_b32_e32 v5, 0x80
	s_mov_b32 s5, exec_lo
	v_and_b32_e32 v4, 0x7fffffff, v3
	v_cmpx_gt_u32_e32 0x43800000, v4
	s_cbranch_execz .LBB6_1942
; %bb.1937:
	v_cmp_lt_u32_e32 vcc_lo, 0x3bffffff, v4
	s_mov_b32 s10, 0
                                        ; implicit-def: $vgpr4
	s_and_saveexec_b32 s11, vcc_lo
	s_xor_b32 s11, exec_lo, s11
	s_cbranch_execz .LBB6_2119
; %bb.1938:
	v_bfe_u32 v4, v3, 20, 1
	s_mov_b32 s10, exec_lo
	v_add3_u32 v4, v3, v4, 0x487ffff
	v_lshrrev_b32_e32 v4, 20, v4
	s_andn2_saveexec_b32 s11, s11
	s_cbranch_execnz .LBB6_2120
.LBB6_1939:
	s_or_b32 exec_lo, exec_lo, s11
	v_mov_b32_e32 v5, 0
	s_and_saveexec_b32 s11, s10
.LBB6_1940:
	v_lshrrev_b32_e32 v3, 24, v3
	v_and_or_b32 v5, 0x80, v3, v4
.LBB6_1941:
	s_or_b32 exec_lo, exec_lo, s11
.LBB6_1942:
	s_or_b32 exec_lo, exec_lo, s5
	global_store_byte v[0:1], v5, off
.LBB6_1943:
	s_mov_b32 s5, -1
.LBB6_1944:
	s_mov_b32 s10, 0
.LBB6_1945:
	s_and_b32 vcc_lo, exec_lo, s10
	s_cbranch_vccz .LBB6_1985
; %bb.1946:
	s_cmp_gt_i32 s2, 22
	s_mov_b32 s3, -1
	s_cbranch_scc0 .LBB6_1978
; %bb.1947:
	s_cmp_lt_i32 s2, 24
	s_cbranch_scc1 .LBB6_1967
; %bb.1948:
	s_cmp_gt_i32 s2, 24
	s_cbranch_scc0 .LBB6_1956
; %bb.1949:
	v_cvt_f32_f64_e32 v3, v[8:9]
	v_mov_b32_e32 v5, 0x80
	s_mov_b32 s3, exec_lo
	v_and_b32_e32 v4, 0x7fffffff, v3
	v_cmpx_gt_u32_e32 0x47800000, v4
	s_cbranch_execz .LBB6_1955
; %bb.1950:
	v_cmp_lt_u32_e32 vcc_lo, 0x37ffffff, v4
	s_mov_b32 s5, 0
                                        ; implicit-def: $vgpr4
	s_and_saveexec_b32 s10, vcc_lo
	s_xor_b32 s10, exec_lo, s10
	s_cbranch_execz .LBB6_2122
; %bb.1951:
	v_bfe_u32 v4, v3, 21, 1
	s_mov_b32 s5, exec_lo
	v_add3_u32 v4, v3, v4, 0x88fffff
	v_lshrrev_b32_e32 v4, 21, v4
	s_andn2_saveexec_b32 s10, s10
	s_cbranch_execnz .LBB6_2123
.LBB6_1952:
	s_or_b32 exec_lo, exec_lo, s10
	v_mov_b32_e32 v5, 0
	s_and_saveexec_b32 s10, s5
.LBB6_1953:
	v_lshrrev_b32_e32 v3, 24, v3
	v_and_or_b32 v5, 0x80, v3, v4
.LBB6_1954:
	s_or_b32 exec_lo, exec_lo, s10
.LBB6_1955:
	s_or_b32 exec_lo, exec_lo, s3
	s_mov_b32 s3, 0
	global_store_byte v[0:1], v5, off
.LBB6_1956:
	s_and_b32 vcc_lo, exec_lo, s3
	s_cbranch_vccz .LBB6_1966
; %bb.1957:
	v_cvt_f32_f64_e32 v3, v[8:9]
	s_mov_b32 s3, exec_lo
                                        ; implicit-def: $vgpr4
	v_and_b32_e32 v5, 0x7fffffff, v3
	v_cmpx_gt_u32_e32 0x43f00000, v5
	s_xor_b32 s3, exec_lo, s3
	s_cbranch_execz .LBB6_1963
; %bb.1958:
	s_mov_b32 s5, exec_lo
                                        ; implicit-def: $vgpr4
	v_cmpx_lt_u32_e32 0x3c7fffff, v5
	s_xor_b32 s5, exec_lo, s5
; %bb.1959:
	v_bfe_u32 v4, v3, 20, 1
	v_add3_u32 v4, v3, v4, 0x407ffff
	v_and_b32_e32 v5, 0xff00000, v4
	v_lshrrev_b32_e32 v4, 20, v4
	v_cmp_ne_u32_e32 vcc_lo, 0x7f00000, v5
	v_cndmask_b32_e32 v4, 0x7e, v4, vcc_lo
; %bb.1960:
	s_andn2_saveexec_b32 s5, s5
; %bb.1961:
	v_add_f32_e64 v4, 0x46800000, |v3|
; %bb.1962:
	s_or_b32 exec_lo, exec_lo, s5
                                        ; implicit-def: $vgpr5
.LBB6_1963:
	s_andn2_saveexec_b32 s3, s3
; %bb.1964:
	v_mov_b32_e32 v4, 0x7f
	v_cmp_lt_u32_e32 vcc_lo, 0x7f800000, v5
	v_cndmask_b32_e32 v4, 0x7e, v4, vcc_lo
; %bb.1965:
	s_or_b32 exec_lo, exec_lo, s3
	v_lshrrev_b32_e32 v3, 24, v3
	v_and_or_b32 v3, 0x80, v3, v4
	global_store_byte v[0:1], v3, off
.LBB6_1966:
	s_mov_b32 s3, 0
.LBB6_1967:
	s_andn2_b32 vcc_lo, exec_lo, s3
	s_cbranch_vccnz .LBB6_1977
; %bb.1968:
	v_cvt_f32_f64_e32 v3, v[8:9]
	s_mov_b32 s3, exec_lo
                                        ; implicit-def: $vgpr4
	v_and_b32_e32 v5, 0x7fffffff, v3
	v_cmpx_gt_u32_e32 0x47800000, v5
	s_xor_b32 s3, exec_lo, s3
	s_cbranch_execz .LBB6_1974
; %bb.1969:
	s_mov_b32 s5, exec_lo
                                        ; implicit-def: $vgpr4
	v_cmpx_lt_u32_e32 0x387fffff, v5
	s_xor_b32 s5, exec_lo, s5
; %bb.1970:
	v_bfe_u32 v4, v3, 21, 1
	v_add3_u32 v4, v3, v4, 0x80fffff
	v_lshrrev_b32_e32 v4, 21, v4
; %bb.1971:
	s_andn2_saveexec_b32 s5, s5
; %bb.1972:
	v_add_f32_e64 v4, 0x43000000, |v3|
; %bb.1973:
	s_or_b32 exec_lo, exec_lo, s5
                                        ; implicit-def: $vgpr5
.LBB6_1974:
	s_andn2_saveexec_b32 s3, s3
; %bb.1975:
	v_mov_b32_e32 v4, 0x7f
	v_cmp_lt_u32_e32 vcc_lo, 0x7f800000, v5
	v_cndmask_b32_e32 v4, 0x7c, v4, vcc_lo
; %bb.1976:
	s_or_b32 exec_lo, exec_lo, s3
	v_lshrrev_b32_e32 v3, 24, v3
	v_and_or_b32 v3, 0x80, v3, v4
	global_store_byte v[0:1], v3, off
.LBB6_1977:
	s_mov_b32 s3, 0
	s_mov_b32 s5, -1
.LBB6_1978:
	s_andn2_b32 vcc_lo, exec_lo, s3
	s_mov_b32 s3, 0
	s_cbranch_vccnz .LBB6_1985
; %bb.1979:
	s_cmp_gt_i32 s2, 14
	s_mov_b32 s3, -1
	s_cbranch_scc0 .LBB6_1983
; %bb.1980:
	s_cmp_eq_u32 s2, 15
	s_mov_b32 s0, -1
	s_cbranch_scc0 .LBB6_1982
; %bb.1981:
	v_cvt_f32_f64_e32 v3, v[8:9]
	s_mov_b32 s0, 0
	s_mov_b32 s5, -1
	v_bfe_u32 v4, v3, 16, 1
	v_cmp_o_f32_e32 vcc_lo, v3, v3
	v_add3_u32 v3, v3, v4, 0x7fff
	v_mov_b32_e32 v4, 0x7fc0
	v_cndmask_b32_sdwa v3, v4, v3, vcc_lo dst_sel:DWORD dst_unused:UNUSED_PAD src0_sel:DWORD src1_sel:WORD_1
	global_store_short v[0:1], v3, off
.LBB6_1982:
	s_mov_b32 s3, 0
.LBB6_1983:
	s_and_b32 vcc_lo, exec_lo, s3
	s_mov_b32 s3, 0
	s_cbranch_vccz .LBB6_1985
; %bb.1984:
	s_cmp_lg_u32 s2, 11
	s_mov_b32 s3, -1
	s_cselect_b32 s0, -1, 0
.LBB6_1985:
	s_and_b32 vcc_lo, exec_lo, s0
	s_cbranch_vccnz .LBB6_2121
; %bb.1986:
	s_andn2_b32 vcc_lo, exec_lo, s3
	s_cbranch_vccnz .LBB6_1988
.LBB6_1987:
	v_cmp_neq_f64_e32 vcc_lo, 0, v[8:9]
	s_mov_b32 s5, -1
	v_cndmask_b32_e64 v3, 0, 1, vcc_lo
	global_store_byte v[0:1], v3, off
.LBB6_1988:
	s_mov_b32 s0, 0
	s_branch .LBB6_1990
.LBB6_1989:
	s_mov_b32 s0, -1
	s_mov_b32 s5, 0
.LBB6_1990:
	s_and_b32 vcc_lo, exec_lo, s0
	s_cbranch_vccz .LBB6_2029
; %bb.1991:
	s_and_b32 s0, 0xffff, s12
	s_mov_b32 s2, -1
	s_cmp_lt_i32 s0, 5
	s_cbranch_scc1 .LBB6_2012
; %bb.1992:
	s_cmp_lt_i32 s0, 8
	s_cbranch_scc1 .LBB6_2002
; %bb.1993:
	;; [unrolled: 3-line block ×3, first 2 shown]
	s_cmp_gt_i32 s0, 9
	s_cbranch_scc0 .LBB6_1996
; %bb.1995:
	v_mov_b32_e32 v10, 0
	s_mov_b32 s2, 0
	v_mov_b32_e32 v11, v10
	global_store_dwordx4 v[0:1], v[8:11], off
.LBB6_1996:
	s_andn2_b32 vcc_lo, exec_lo, s2
	s_cbranch_vccnz .LBB6_1998
; %bb.1997:
	v_cvt_f32_f64_e32 v3, v[8:9]
	v_mov_b32_e32 v4, 0
	global_store_dwordx2 v[0:1], v[3:4], off
.LBB6_1998:
	s_mov_b32 s2, 0
.LBB6_1999:
	s_andn2_b32 vcc_lo, exec_lo, s2
	s_cbranch_vccnz .LBB6_2001
; %bb.2000:
	v_and_or_b32 v3, 0x1ff, v9, v8
	v_lshrrev_b32_e32 v4, 8, v9
	v_bfe_u32 v5, v9, 20, 11
	v_cmp_ne_u32_e32 vcc_lo, 0, v3
	v_sub_nc_u32_e32 v6, 0x3f1, v5
	v_add_nc_u32_e32 v5, 0xfffffc10, v5
	v_cndmask_b32_e64 v3, 0, 1, vcc_lo
	v_and_or_b32 v3, 0xffe, v4, v3
	v_med3_i32 v4, v6, 0, 13
	v_or_b32_e32 v6, 0x1000, v3
	v_lshrrev_b32_e32 v7, v4, v6
	v_lshlrev_b32_e32 v4, v4, v7
	v_cmp_ne_u32_e32 vcc_lo, v4, v6
	v_lshl_or_b32 v6, v5, 12, v3
	v_cndmask_b32_e64 v4, 0, 1, vcc_lo
	v_cmp_gt_i32_e32 vcc_lo, 1, v5
	v_or_b32_e32 v4, v7, v4
	v_cndmask_b32_e32 v4, v6, v4, vcc_lo
	v_and_b32_e32 v6, 7, v4
	v_lshrrev_b32_e32 v4, 2, v4
	v_cmp_lt_i32_e32 vcc_lo, 5, v6
	v_cndmask_b32_e64 v7, 0, 1, vcc_lo
	v_cmp_eq_u32_e32 vcc_lo, 3, v6
	v_cndmask_b32_e64 v6, 0, 1, vcc_lo
	v_cmp_ne_u32_e32 vcc_lo, 0, v3
	v_or_b32_e32 v6, v6, v7
	v_mov_b32_e32 v7, 0x7e00
	v_add_nc_u32_e32 v4, v4, v6
	v_cndmask_b32_e32 v3, 0x7c00, v7, vcc_lo
	v_cmp_gt_i32_e32 vcc_lo, 31, v5
	v_cndmask_b32_e32 v4, 0x7c00, v4, vcc_lo
	v_cmp_eq_u32_e32 vcc_lo, 0x40f, v5
	v_cndmask_b32_e32 v3, v4, v3, vcc_lo
	v_lshrrev_b32_e32 v4, 16, v9
	v_and_or_b32 v3, 0x8000, v4, v3
	v_and_b32_e32 v3, 0xffff, v3
	global_store_dword v[0:1], v3, off
.LBB6_2001:
	s_mov_b32 s2, 0
.LBB6_2002:
	s_andn2_b32 vcc_lo, exec_lo, s2
	s_cbranch_vccnz .LBB6_2011
; %bb.2003:
	s_cmp_lt_i32 s0, 6
	s_mov_b32 s2, -1
	s_cbranch_scc1 .LBB6_2009
; %bb.2004:
	s_cmp_gt_i32 s0, 6
	s_cbranch_scc0 .LBB6_2006
; %bb.2005:
	s_mov_b32 s2, 0
	global_store_dwordx2 v[0:1], v[8:9], off
.LBB6_2006:
	s_andn2_b32 vcc_lo, exec_lo, s2
	s_cbranch_vccnz .LBB6_2008
; %bb.2007:
	v_cvt_f32_f64_e32 v3, v[8:9]
	global_store_dword v[0:1], v3, off
.LBB6_2008:
	s_mov_b32 s2, 0
.LBB6_2009:
	s_andn2_b32 vcc_lo, exec_lo, s2
	s_cbranch_vccnz .LBB6_2011
; %bb.2010:
	v_and_or_b32 v3, 0x1ff, v9, v8
	v_lshrrev_b32_e32 v4, 8, v9
	v_bfe_u32 v5, v9, 20, 11
	v_cmp_ne_u32_e32 vcc_lo, 0, v3
	v_sub_nc_u32_e32 v6, 0x3f1, v5
	v_add_nc_u32_e32 v5, 0xfffffc10, v5
	v_cndmask_b32_e64 v3, 0, 1, vcc_lo
	v_and_or_b32 v3, 0xffe, v4, v3
	v_med3_i32 v4, v6, 0, 13
	v_or_b32_e32 v6, 0x1000, v3
	v_lshrrev_b32_e32 v7, v4, v6
	v_lshlrev_b32_e32 v4, v4, v7
	v_cmp_ne_u32_e32 vcc_lo, v4, v6
	v_lshl_or_b32 v6, v5, 12, v3
	v_cndmask_b32_e64 v4, 0, 1, vcc_lo
	v_cmp_gt_i32_e32 vcc_lo, 1, v5
	v_or_b32_e32 v4, v7, v4
	v_cndmask_b32_e32 v4, v6, v4, vcc_lo
	v_and_b32_e32 v6, 7, v4
	v_lshrrev_b32_e32 v4, 2, v4
	v_cmp_lt_i32_e32 vcc_lo, 5, v6
	v_cndmask_b32_e64 v7, 0, 1, vcc_lo
	v_cmp_eq_u32_e32 vcc_lo, 3, v6
	v_cndmask_b32_e64 v6, 0, 1, vcc_lo
	v_cmp_ne_u32_e32 vcc_lo, 0, v3
	v_or_b32_e32 v6, v6, v7
	v_mov_b32_e32 v7, 0x7e00
	v_add_nc_u32_e32 v4, v4, v6
	v_cndmask_b32_e32 v3, 0x7c00, v7, vcc_lo
	v_cmp_gt_i32_e32 vcc_lo, 31, v5
	v_cndmask_b32_e32 v4, 0x7c00, v4, vcc_lo
	v_cmp_eq_u32_e32 vcc_lo, 0x40f, v5
	v_cndmask_b32_e32 v3, v4, v3, vcc_lo
	v_lshrrev_b32_e32 v4, 16, v9
	v_and_or_b32 v3, 0x8000, v4, v3
	global_store_short v[0:1], v3, off
.LBB6_2011:
	s_mov_b32 s2, 0
.LBB6_2012:
	s_andn2_b32 vcc_lo, exec_lo, s2
	s_cbranch_vccnz .LBB6_2028
; %bb.2013:
	s_cmp_lt_i32 s0, 2
	s_mov_b32 s2, -1
	s_cbranch_scc1 .LBB6_2023
; %bb.2014:
	s_cmp_lt_i32 s0, 3
	s_cbranch_scc1 .LBB6_2020
; %bb.2015:
	s_cmp_gt_i32 s0, 3
	s_cbranch_scc0 .LBB6_2017
; %bb.2016:
	v_trunc_f64_e32 v[3:4], v[8:9]
	s_mov_b32 s2, 0
	v_ldexp_f64 v[5:6], v[3:4], 0xffffffe0
	v_floor_f64_e32 v[5:6], v[5:6]
	v_fma_f64 v[3:4], 0xc1f00000, v[5:6], v[3:4]
	v_cvt_i32_f64_e32 v5, v[5:6]
	v_cvt_u32_f64_e32 v4, v[3:4]
	global_store_dwordx2 v[0:1], v[4:5], off
.LBB6_2017:
	s_andn2_b32 vcc_lo, exec_lo, s2
	s_cbranch_vccnz .LBB6_2019
; %bb.2018:
	v_cvt_i32_f64_e32 v3, v[8:9]
	global_store_dword v[0:1], v3, off
.LBB6_2019:
	s_mov_b32 s2, 0
.LBB6_2020:
	s_andn2_b32 vcc_lo, exec_lo, s2
	s_cbranch_vccnz .LBB6_2022
; %bb.2021:
	v_cvt_i32_f64_e32 v3, v[8:9]
	global_store_short v[0:1], v3, off
.LBB6_2022:
	s_mov_b32 s2, 0
.LBB6_2023:
	s_andn2_b32 vcc_lo, exec_lo, s2
	s_cbranch_vccnz .LBB6_2028
; %bb.2024:
	s_cmp_gt_i32 s0, 0
	s_mov_b32 s0, -1
	s_cbranch_scc0 .LBB6_2026
; %bb.2025:
	v_cvt_i32_f64_e32 v3, v[8:9]
	s_mov_b32 s0, 0
	global_store_byte v[0:1], v3, off
.LBB6_2026:
	s_andn2_b32 vcc_lo, exec_lo, s0
	s_cbranch_vccnz .LBB6_2028
; %bb.2027:
	v_trunc_f64_e32 v[3:4], v[8:9]
	v_ldexp_f64 v[5:6], v[3:4], 0xffffffe0
	v_floor_f64_e32 v[5:6], v[5:6]
	v_fma_f64 v[3:4], 0xc1f00000, v[5:6], v[3:4]
	v_cvt_u32_f64_e32 v3, v[3:4]
	global_store_byte v[0:1], v3, off
.LBB6_2028:
	s_mov_b32 s5, -1
.LBB6_2029:
	s_andn2_b32 vcc_lo, exec_lo, s5
	s_cbranch_vccnz .LBB6_2106
; %bb.2030:
	v_add_nc_u32_e32 v0, s1, v2
	s_cmp_lt_i32 s12, 11
	v_ashrrev_i32_e32 v1, 31, v0
	v_add_co_u32 v0, vcc_lo, s8, v0
	v_add_co_ci_u32_e64 v1, null, s9, v1, vcc_lo
	s_cbranch_scc1 .LBB6_2107
; %bb.2031:
	s_and_b32 s1, 0xffff, s12
	s_mov_b32 s3, -1
	s_mov_b32 s2, 0
	s_cmp_gt_i32 s1, 25
	s_mov_b32 s0, 0
	s_cbranch_scc0 .LBB6_2064
; %bb.2032:
	s_cmp_gt_i32 s1, 28
	s_cbranch_scc0 .LBB6_2048
; %bb.2033:
	s_cmp_gt_i32 s1, 43
	;; [unrolled: 3-line block ×3, first 2 shown]
	s_cbranch_scc0 .LBB6_2038
; %bb.2035:
	s_cmp_eq_u32 s1, 46
	s_mov_b32 s0, -1
	s_cbranch_scc0 .LBB6_2037
; %bb.2036:
	v_cvt_f32_f64_e32 v2, v[12:13]
	s_mov_b32 s0, 0
	v_bfe_u32 v3, v2, 16, 1
	v_cmp_o_f32_e32 vcc_lo, v2, v2
	v_add3_u32 v2, v2, v3, 0x7fff
	v_mov_b32_e32 v3, 0x7fc0
	v_cndmask_b32_sdwa v2, v3, v2, vcc_lo dst_sel:DWORD dst_unused:UNUSED_PAD src0_sel:DWORD src1_sel:WORD_1
	global_store_dword v[0:1], v2, off
.LBB6_2037:
	s_mov_b32 s3, 0
.LBB6_2038:
	s_and_b32 vcc_lo, exec_lo, s3
	s_cbranch_vccz .LBB6_2043
; %bb.2039:
	s_cmp_eq_u32 s1, 44
	s_mov_b32 s0, -1
	s_cbranch_scc0 .LBB6_2043
; %bb.2040:
	v_cvt_f32_f64_e32 v2, v[12:13]
	v_mov_b32_e32 v3, 0xff
	s_mov_b32 s3, exec_lo
	v_bfe_u32 v4, v2, 23, 8
	v_cmpx_ne_u32_e32 0xff, v4
	s_cbranch_execz .LBB6_2042
; %bb.2041:
	v_and_b32_e32 v3, 0x400000, v2
	v_and_or_b32 v4, 0x3fffff, v2, v4
	v_lshrrev_b32_e32 v2, 23, v2
	v_cmp_ne_u32_e32 vcc_lo, 0, v3
	v_cmp_ne_u32_e64 s0, 0, v4
	s_and_b32 s0, vcc_lo, s0
	v_cndmask_b32_e64 v3, 0, 1, s0
	v_add_nc_u32_e32 v3, v2, v3
.LBB6_2042:
	s_or_b32 exec_lo, exec_lo, s3
	s_mov_b32 s0, 0
	global_store_byte v[0:1], v3, off
.LBB6_2043:
	s_mov_b32 s3, 0
.LBB6_2044:
	s_and_b32 vcc_lo, exec_lo, s3
	s_cbranch_vccz .LBB6_2047
; %bb.2045:
	s_cmp_eq_u32 s1, 29
	s_mov_b32 s0, -1
	s_cbranch_scc0 .LBB6_2047
; %bb.2046:
	v_trunc_f64_e32 v[2:3], v[12:13]
	s_mov_b32 s0, 0
	v_ldexp_f64 v[4:5], v[2:3], 0xffffffe0
	v_floor_f64_e32 v[4:5], v[4:5]
	v_fma_f64 v[2:3], 0xc1f00000, v[4:5], v[2:3]
	v_cvt_u32_f64_e32 v4, v[4:5]
	v_cvt_u32_f64_e32 v3, v[2:3]
	global_store_dwordx2 v[0:1], v[3:4], off
.LBB6_2047:
	s_mov_b32 s3, 0
.LBB6_2048:
	s_and_b32 vcc_lo, exec_lo, s3
	s_cbranch_vccz .LBB6_2063
; %bb.2049:
	s_cmp_lt_i32 s1, 27
	s_mov_b32 s3, -1
	s_cbranch_scc1 .LBB6_2055
; %bb.2050:
	v_cvt_u32_f64_e32 v2, v[12:13]
	s_cmp_gt_i32 s1, 27
	s_cbranch_scc0 .LBB6_2052
; %bb.2051:
	s_mov_b32 s3, 0
	global_store_dword v[0:1], v2, off
.LBB6_2052:
	s_andn2_b32 vcc_lo, exec_lo, s3
	s_cbranch_vccnz .LBB6_2054
; %bb.2053:
	global_store_short v[0:1], v2, off
.LBB6_2054:
	s_mov_b32 s3, 0
.LBB6_2055:
	s_andn2_b32 vcc_lo, exec_lo, s3
	s_cbranch_vccnz .LBB6_2063
; %bb.2056:
	v_cvt_f32_f64_e32 v2, v[12:13]
	v_mov_b32_e32 v4, 0x80
	s_mov_b32 s3, exec_lo
	v_and_b32_e32 v3, 0x7fffffff, v2
	v_cmpx_gt_u32_e32 0x43800000, v3
	s_cbranch_execz .LBB6_2062
; %bb.2057:
	v_cmp_lt_u32_e32 vcc_lo, 0x3bffffff, v3
	s_mov_b32 s5, 0
                                        ; implicit-def: $vgpr3
	s_and_saveexec_b32 s8, vcc_lo
	s_xor_b32 s8, exec_lo, s8
	s_cbranch_execz .LBB6_2124
; %bb.2058:
	v_bfe_u32 v3, v2, 20, 1
	s_mov_b32 s5, exec_lo
	v_add3_u32 v3, v2, v3, 0x487ffff
	v_lshrrev_b32_e32 v3, 20, v3
	s_andn2_saveexec_b32 s8, s8
	s_cbranch_execnz .LBB6_2125
.LBB6_2059:
	s_or_b32 exec_lo, exec_lo, s8
	v_mov_b32_e32 v4, 0
	s_and_saveexec_b32 s8, s5
.LBB6_2060:
	v_lshrrev_b32_e32 v2, 24, v2
	v_and_or_b32 v4, 0x80, v2, v3
.LBB6_2061:
	s_or_b32 exec_lo, exec_lo, s8
.LBB6_2062:
	s_or_b32 exec_lo, exec_lo, s3
	global_store_byte v[0:1], v4, off
.LBB6_2063:
	s_mov_b32 s3, 0
.LBB6_2064:
	s_and_b32 vcc_lo, exec_lo, s3
	s_cbranch_vccz .LBB6_2104
; %bb.2065:
	s_cmp_gt_i32 s1, 22
	s_mov_b32 s2, -1
	s_cbranch_scc0 .LBB6_2097
; %bb.2066:
	s_cmp_lt_i32 s1, 24
	s_cbranch_scc1 .LBB6_2086
; %bb.2067:
	s_cmp_gt_i32 s1, 24
	s_cbranch_scc0 .LBB6_2075
; %bb.2068:
	v_cvt_f32_f64_e32 v2, v[12:13]
	v_mov_b32_e32 v4, 0x80
	s_mov_b32 s2, exec_lo
	v_and_b32_e32 v3, 0x7fffffff, v2
	v_cmpx_gt_u32_e32 0x47800000, v3
	s_cbranch_execz .LBB6_2074
; %bb.2069:
	v_cmp_lt_u32_e32 vcc_lo, 0x37ffffff, v3
	s_mov_b32 s3, 0
                                        ; implicit-def: $vgpr3
	s_and_saveexec_b32 s5, vcc_lo
	s_xor_b32 s5, exec_lo, s5
	s_cbranch_execz .LBB6_2127
; %bb.2070:
	v_bfe_u32 v3, v2, 21, 1
	s_mov_b32 s3, exec_lo
	v_add3_u32 v3, v2, v3, 0x88fffff
	v_lshrrev_b32_e32 v3, 21, v3
	s_andn2_saveexec_b32 s5, s5
	s_cbranch_execnz .LBB6_2128
.LBB6_2071:
	s_or_b32 exec_lo, exec_lo, s5
	v_mov_b32_e32 v4, 0
	s_and_saveexec_b32 s5, s3
.LBB6_2072:
	v_lshrrev_b32_e32 v2, 24, v2
	v_and_or_b32 v4, 0x80, v2, v3
.LBB6_2073:
	s_or_b32 exec_lo, exec_lo, s5
.LBB6_2074:
	s_or_b32 exec_lo, exec_lo, s2
	s_mov_b32 s2, 0
	global_store_byte v[0:1], v4, off
.LBB6_2075:
	s_and_b32 vcc_lo, exec_lo, s2
	s_cbranch_vccz .LBB6_2085
; %bb.2076:
	v_cvt_f32_f64_e32 v2, v[12:13]
	s_mov_b32 s2, exec_lo
                                        ; implicit-def: $vgpr3
	v_and_b32_e32 v4, 0x7fffffff, v2
	v_cmpx_gt_u32_e32 0x43f00000, v4
	s_xor_b32 s2, exec_lo, s2
	s_cbranch_execz .LBB6_2082
; %bb.2077:
	s_mov_b32 s3, exec_lo
                                        ; implicit-def: $vgpr3
	v_cmpx_lt_u32_e32 0x3c7fffff, v4
	s_xor_b32 s3, exec_lo, s3
; %bb.2078:
	v_bfe_u32 v3, v2, 20, 1
	v_add3_u32 v3, v2, v3, 0x407ffff
	v_and_b32_e32 v4, 0xff00000, v3
	v_lshrrev_b32_e32 v3, 20, v3
	v_cmp_ne_u32_e32 vcc_lo, 0x7f00000, v4
	v_cndmask_b32_e32 v3, 0x7e, v3, vcc_lo
; %bb.2079:
	s_andn2_saveexec_b32 s3, s3
; %bb.2080:
	v_add_f32_e64 v3, 0x46800000, |v2|
; %bb.2081:
	s_or_b32 exec_lo, exec_lo, s3
                                        ; implicit-def: $vgpr4
.LBB6_2082:
	s_andn2_saveexec_b32 s2, s2
; %bb.2083:
	v_mov_b32_e32 v3, 0x7f
	v_cmp_lt_u32_e32 vcc_lo, 0x7f800000, v4
	v_cndmask_b32_e32 v3, 0x7e, v3, vcc_lo
; %bb.2084:
	s_or_b32 exec_lo, exec_lo, s2
	v_lshrrev_b32_e32 v2, 24, v2
	v_and_or_b32 v2, 0x80, v2, v3
	global_store_byte v[0:1], v2, off
.LBB6_2085:
	s_mov_b32 s2, 0
.LBB6_2086:
	s_andn2_b32 vcc_lo, exec_lo, s2
	s_cbranch_vccnz .LBB6_2096
; %bb.2087:
	v_cvt_f32_f64_e32 v2, v[12:13]
	s_mov_b32 s2, exec_lo
                                        ; implicit-def: $vgpr3
	v_and_b32_e32 v4, 0x7fffffff, v2
	v_cmpx_gt_u32_e32 0x47800000, v4
	s_xor_b32 s2, exec_lo, s2
	s_cbranch_execz .LBB6_2093
; %bb.2088:
	s_mov_b32 s3, exec_lo
                                        ; implicit-def: $vgpr3
	v_cmpx_lt_u32_e32 0x387fffff, v4
	s_xor_b32 s3, exec_lo, s3
; %bb.2089:
	v_bfe_u32 v3, v2, 21, 1
	v_add3_u32 v3, v2, v3, 0x80fffff
	v_lshrrev_b32_e32 v3, 21, v3
; %bb.2090:
	s_andn2_saveexec_b32 s3, s3
; %bb.2091:
	v_add_f32_e64 v3, 0x43000000, |v2|
; %bb.2092:
	s_or_b32 exec_lo, exec_lo, s3
                                        ; implicit-def: $vgpr4
.LBB6_2093:
	s_andn2_saveexec_b32 s2, s2
; %bb.2094:
	v_mov_b32_e32 v3, 0x7f
	v_cmp_lt_u32_e32 vcc_lo, 0x7f800000, v4
	v_cndmask_b32_e32 v3, 0x7c, v3, vcc_lo
; %bb.2095:
	s_or_b32 exec_lo, exec_lo, s2
	v_lshrrev_b32_e32 v2, 24, v2
	v_and_or_b32 v2, 0x80, v2, v3
	global_store_byte v[0:1], v2, off
.LBB6_2096:
	s_mov_b32 s2, 0
.LBB6_2097:
	s_andn2_b32 vcc_lo, exec_lo, s2
	s_mov_b32 s2, 0
	s_cbranch_vccnz .LBB6_2104
; %bb.2098:
	s_cmp_gt_i32 s1, 14
	s_mov_b32 s2, -1
	s_cbranch_scc0 .LBB6_2102
; %bb.2099:
	s_cmp_eq_u32 s1, 15
	s_mov_b32 s0, -1
	s_cbranch_scc0 .LBB6_2101
; %bb.2100:
	v_cvt_f32_f64_e32 v2, v[12:13]
	s_mov_b32 s0, 0
	v_bfe_u32 v3, v2, 16, 1
	v_cmp_o_f32_e32 vcc_lo, v2, v2
	v_add3_u32 v2, v2, v3, 0x7fff
	v_mov_b32_e32 v3, 0x7fc0
	v_cndmask_b32_sdwa v2, v3, v2, vcc_lo dst_sel:DWORD dst_unused:UNUSED_PAD src0_sel:DWORD src1_sel:WORD_1
	global_store_short v[0:1], v2, off
.LBB6_2101:
	s_mov_b32 s2, 0
.LBB6_2102:
	s_and_b32 vcc_lo, exec_lo, s2
	s_mov_b32 s2, 0
	s_cbranch_vccz .LBB6_2104
; %bb.2103:
	s_cmp_lg_u32 s1, 11
	s_mov_b32 s2, -1
	s_cselect_b32 s0, -1, 0
.LBB6_2104:
	s_and_b32 vcc_lo, exec_lo, s0
	s_cbranch_vccnz .LBB6_2126
.LBB6_2105:
	s_mov_b32 s0, 0
	s_branch .LBB6_1707
.LBB6_2106:
	s_mov_b32 s0, 0
	s_mov_b32 s2, 0
                                        ; implicit-def: $sgpr12
                                        ; implicit-def: $vgpr0_vgpr1
	s_branch .LBB6_1707
.LBB6_2107:
	s_mov_b32 s2, 0
	s_mov_b32 s0, -1
	s_branch .LBB6_1707
.LBB6_2108:
	s_or_b32 s4, s4, exec_lo
	s_trap 2
	s_cbranch_execz .LBB6_1566
	s_branch .LBB6_1567
.LBB6_2109:
	s_andn2_saveexec_b32 s11, s11
	s_cbranch_execz .LBB6_1656
.LBB6_2110:
	v_add_f32_e64 v3, 0x46000000, |v2|
	s_andn2_b32 s10, s10, exec_lo
	v_and_b32_e32 v3, 0xff, v3
	v_cmp_ne_u32_e32 vcc_lo, 0, v3
	s_and_b32 s13, vcc_lo, exec_lo
	s_or_b32 s10, s10, s13
	s_or_b32 exec_lo, exec_lo, s11
	v_mov_b32_e32 v11, 0
	s_and_saveexec_b32 s11, s10
	s_cbranch_execnz .LBB6_1657
	s_branch .LBB6_1658
.LBB6_2111:
	s_or_b32 s4, s4, exec_lo
	s_trap 2
	s_cbranch_execz .LBB6_1704
	s_branch .LBB6_1705
.LBB6_2112:
	s_andn2_saveexec_b32 s10, s10
	s_cbranch_execz .LBB6_1669
.LBB6_2113:
	v_add_f32_e64 v3, 0x42800000, |v2|
	s_andn2_b32 s5, s5, exec_lo
	v_and_b32_e32 v3, 0xff, v3
	v_cmp_ne_u32_e32 vcc_lo, 0, v3
	s_and_b32 s11, vcc_lo, exec_lo
	s_or_b32 s5, s5, s11
	s_or_b32 exec_lo, exec_lo, s10
	v_mov_b32_e32 v11, 0
	s_and_saveexec_b32 s10, s5
	s_cbranch_execnz .LBB6_1670
	s_branch .LBB6_1671
.LBB6_2114:
	s_andn2_saveexec_b32 s11, s11
	s_cbranch_execz .LBB6_1820
.LBB6_2115:
	v_add_f32_e64 v6, 0x46000000, |v3|
	s_andn2_b32 s10, s10, exec_lo
	v_and_b32_e32 v6, 0xff, v6
	v_cmp_ne_u32_e32 vcc_lo, 0, v6
	s_and_b32 s13, vcc_lo, exec_lo
	s_or_b32 s10, s10, s13
	s_or_b32 exec_lo, exec_lo, s11
	v_mov_b32_e32 v7, 0
	s_and_saveexec_b32 s11, s10
	s_cbranch_execnz .LBB6_1821
	s_branch .LBB6_1822
.LBB6_2116:
	s_or_b32 s4, s4, exec_lo
	s_trap 2
	s_cbranch_execz .LBB6_1868
	s_branch .LBB6_1869
.LBB6_2117:
	s_andn2_saveexec_b32 s10, s10
	s_cbranch_execz .LBB6_1833
.LBB6_2118:
	v_add_f32_e64 v6, 0x42800000, |v3|
	s_andn2_b32 s5, s5, exec_lo
	v_and_b32_e32 v6, 0xff, v6
	v_cmp_ne_u32_e32 vcc_lo, 0, v6
	s_and_b32 s11, vcc_lo, exec_lo
	s_or_b32 s5, s5, s11
	s_or_b32 exec_lo, exec_lo, s10
	v_mov_b32_e32 v7, 0
	s_and_saveexec_b32 s10, s5
	s_cbranch_execnz .LBB6_1834
	s_branch .LBB6_1835
.LBB6_2119:
	s_andn2_saveexec_b32 s11, s11
	s_cbranch_execz .LBB6_1939
.LBB6_2120:
	v_add_f32_e64 v4, 0x46000000, |v3|
	s_andn2_b32 s10, s10, exec_lo
	v_and_b32_e32 v4, 0xff, v4
	v_cmp_ne_u32_e32 vcc_lo, 0, v4
	s_and_b32 s13, vcc_lo, exec_lo
	s_or_b32 s10, s10, s13
	s_or_b32 exec_lo, exec_lo, s11
	v_mov_b32_e32 v5, 0
	s_and_saveexec_b32 s11, s10
	s_cbranch_execnz .LBB6_1940
	s_branch .LBB6_1941
.LBB6_2121:
	s_or_b32 s4, s4, exec_lo
	s_trap 2
	s_cbranch_execz .LBB6_1987
	s_branch .LBB6_1988
.LBB6_2122:
	s_andn2_saveexec_b32 s10, s10
	s_cbranch_execz .LBB6_1952
.LBB6_2123:
	v_add_f32_e64 v4, 0x42800000, |v3|
	s_andn2_b32 s5, s5, exec_lo
	v_and_b32_e32 v4, 0xff, v4
	v_cmp_ne_u32_e32 vcc_lo, 0, v4
	s_and_b32 s11, vcc_lo, exec_lo
	s_or_b32 s5, s5, s11
	s_or_b32 exec_lo, exec_lo, s10
	v_mov_b32_e32 v5, 0
	s_and_saveexec_b32 s10, s5
	s_cbranch_execnz .LBB6_1953
	s_branch .LBB6_1954
.LBB6_2124:
	s_andn2_saveexec_b32 s8, s8
	s_cbranch_execz .LBB6_2059
.LBB6_2125:
	v_add_f32_e64 v3, 0x46000000, |v2|
	s_andn2_b32 s5, s5, exec_lo
	v_and_b32_e32 v3, 0xff, v3
	v_cmp_ne_u32_e32 vcc_lo, 0, v3
	s_and_b32 s9, vcc_lo, exec_lo
	s_or_b32 s5, s5, s9
	s_or_b32 exec_lo, exec_lo, s8
	v_mov_b32_e32 v4, 0
	s_and_saveexec_b32 s8, s5
	s_cbranch_execnz .LBB6_2060
	s_branch .LBB6_2061
.LBB6_2126:
	s_mov_b32 s2, 0
	s_or_b32 s4, s4, exec_lo
	s_trap 2
	s_branch .LBB6_2105
.LBB6_2127:
	s_andn2_saveexec_b32 s5, s5
	s_cbranch_execz .LBB6_2071
.LBB6_2128:
	v_add_f32_e64 v3, 0x42800000, |v2|
	s_andn2_b32 s3, s3, exec_lo
	v_and_b32_e32 v3, 0xff, v3
	v_cmp_ne_u32_e32 vcc_lo, 0, v3
	s_and_b32 s8, vcc_lo, exec_lo
	s_or_b32 s3, s3, s8
	s_or_b32 exec_lo, exec_lo, s5
	v_mov_b32_e32 v4, 0
	s_and_saveexec_b32 s5, s3
	s_cbranch_execnz .LBB6_2072
	s_branch .LBB6_2073
	.section	.rodata,"a",@progbits
	.p2align	6, 0x0
	.amdhsa_kernel _ZN2at6native32elementwise_kernel_manual_unrollILi128ELi4EZNS0_15gpu_kernel_implIZZZNS0_12_GLOBAL__N_131spherical_bessel_j0_kernel_cudaERNS_18TensorIteratorBaseEENKUlvE_clEvENKUlvE_clEvEUldE_EEvS5_RKT_EUlibE_EEviT1_
		.amdhsa_group_segment_fixed_size 0
		.amdhsa_private_segment_fixed_size 0
		.amdhsa_kernarg_size 40
		.amdhsa_user_sgpr_count 6
		.amdhsa_user_sgpr_private_segment_buffer 1
		.amdhsa_user_sgpr_dispatch_ptr 0
		.amdhsa_user_sgpr_queue_ptr 0
		.amdhsa_user_sgpr_kernarg_segment_ptr 1
		.amdhsa_user_sgpr_dispatch_id 0
		.amdhsa_user_sgpr_flat_scratch_init 0
		.amdhsa_user_sgpr_private_segment_size 0
		.amdhsa_wavefront_size32 1
		.amdhsa_uses_dynamic_stack 0
		.amdhsa_system_sgpr_private_segment_wavefront_offset 0
		.amdhsa_system_sgpr_workgroup_id_x 1
		.amdhsa_system_sgpr_workgroup_id_y 0
		.amdhsa_system_sgpr_workgroup_id_z 0
		.amdhsa_system_sgpr_workgroup_info 0
		.amdhsa_system_vgpr_workitem_id 0
		.amdhsa_next_free_vgpr 40
		.amdhsa_next_free_sgpr 28
		.amdhsa_reserve_vcc 1
		.amdhsa_reserve_flat_scratch 0
		.amdhsa_float_round_mode_32 0
		.amdhsa_float_round_mode_16_64 0
		.amdhsa_float_denorm_mode_32 3
		.amdhsa_float_denorm_mode_16_64 3
		.amdhsa_dx10_clamp 1
		.amdhsa_ieee_mode 1
		.amdhsa_fp16_overflow 0
		.amdhsa_workgroup_processor_mode 1
		.amdhsa_memory_ordered 1
		.amdhsa_forward_progress 1
		.amdhsa_shared_vgpr_count 0
		.amdhsa_exception_fp_ieee_invalid_op 0
		.amdhsa_exception_fp_denorm_src 0
		.amdhsa_exception_fp_ieee_div_zero 0
		.amdhsa_exception_fp_ieee_overflow 0
		.amdhsa_exception_fp_ieee_underflow 0
		.amdhsa_exception_fp_ieee_inexact 0
		.amdhsa_exception_int_div_zero 0
	.end_amdhsa_kernel
	.section	.text._ZN2at6native32elementwise_kernel_manual_unrollILi128ELi4EZNS0_15gpu_kernel_implIZZZNS0_12_GLOBAL__N_131spherical_bessel_j0_kernel_cudaERNS_18TensorIteratorBaseEENKUlvE_clEvENKUlvE_clEvEUldE_EEvS5_RKT_EUlibE_EEviT1_,"axG",@progbits,_ZN2at6native32elementwise_kernel_manual_unrollILi128ELi4EZNS0_15gpu_kernel_implIZZZNS0_12_GLOBAL__N_131spherical_bessel_j0_kernel_cudaERNS_18TensorIteratorBaseEENKUlvE_clEvENKUlvE_clEvEUldE_EEvS5_RKT_EUlibE_EEviT1_,comdat
.Lfunc_end6:
	.size	_ZN2at6native32elementwise_kernel_manual_unrollILi128ELi4EZNS0_15gpu_kernel_implIZZZNS0_12_GLOBAL__N_131spherical_bessel_j0_kernel_cudaERNS_18TensorIteratorBaseEENKUlvE_clEvENKUlvE_clEvEUldE_EEvS5_RKT_EUlibE_EEviT1_, .Lfunc_end6-_ZN2at6native32elementwise_kernel_manual_unrollILi128ELi4EZNS0_15gpu_kernel_implIZZZNS0_12_GLOBAL__N_131spherical_bessel_j0_kernel_cudaERNS_18TensorIteratorBaseEENKUlvE_clEvENKUlvE_clEvEUldE_EEvS5_RKT_EUlibE_EEviT1_
                                        ; -- End function
	.set _ZN2at6native32elementwise_kernel_manual_unrollILi128ELi4EZNS0_15gpu_kernel_implIZZZNS0_12_GLOBAL__N_131spherical_bessel_j0_kernel_cudaERNS_18TensorIteratorBaseEENKUlvE_clEvENKUlvE_clEvEUldE_EEvS5_RKT_EUlibE_EEviT1_.num_vgpr, 40
	.set _ZN2at6native32elementwise_kernel_manual_unrollILi128ELi4EZNS0_15gpu_kernel_implIZZZNS0_12_GLOBAL__N_131spherical_bessel_j0_kernel_cudaERNS_18TensorIteratorBaseEENKUlvE_clEvENKUlvE_clEvEUldE_EEvS5_RKT_EUlibE_EEviT1_.num_agpr, 0
	.set _ZN2at6native32elementwise_kernel_manual_unrollILi128ELi4EZNS0_15gpu_kernel_implIZZZNS0_12_GLOBAL__N_131spherical_bessel_j0_kernel_cudaERNS_18TensorIteratorBaseEENKUlvE_clEvENKUlvE_clEvEUldE_EEvS5_RKT_EUlibE_EEviT1_.numbered_sgpr, 28
	.set _ZN2at6native32elementwise_kernel_manual_unrollILi128ELi4EZNS0_15gpu_kernel_implIZZZNS0_12_GLOBAL__N_131spherical_bessel_j0_kernel_cudaERNS_18TensorIteratorBaseEENKUlvE_clEvENKUlvE_clEvEUldE_EEvS5_RKT_EUlibE_EEviT1_.num_named_barrier, 0
	.set _ZN2at6native32elementwise_kernel_manual_unrollILi128ELi4EZNS0_15gpu_kernel_implIZZZNS0_12_GLOBAL__N_131spherical_bessel_j0_kernel_cudaERNS_18TensorIteratorBaseEENKUlvE_clEvENKUlvE_clEvEUldE_EEvS5_RKT_EUlibE_EEviT1_.private_seg_size, 0
	.set _ZN2at6native32elementwise_kernel_manual_unrollILi128ELi4EZNS0_15gpu_kernel_implIZZZNS0_12_GLOBAL__N_131spherical_bessel_j0_kernel_cudaERNS_18TensorIteratorBaseEENKUlvE_clEvENKUlvE_clEvEUldE_EEvS5_RKT_EUlibE_EEviT1_.uses_vcc, 1
	.set _ZN2at6native32elementwise_kernel_manual_unrollILi128ELi4EZNS0_15gpu_kernel_implIZZZNS0_12_GLOBAL__N_131spherical_bessel_j0_kernel_cudaERNS_18TensorIteratorBaseEENKUlvE_clEvENKUlvE_clEvEUldE_EEvS5_RKT_EUlibE_EEviT1_.uses_flat_scratch, 0
	.set _ZN2at6native32elementwise_kernel_manual_unrollILi128ELi4EZNS0_15gpu_kernel_implIZZZNS0_12_GLOBAL__N_131spherical_bessel_j0_kernel_cudaERNS_18TensorIteratorBaseEENKUlvE_clEvENKUlvE_clEvEUldE_EEvS5_RKT_EUlibE_EEviT1_.has_dyn_sized_stack, 0
	.set _ZN2at6native32elementwise_kernel_manual_unrollILi128ELi4EZNS0_15gpu_kernel_implIZZZNS0_12_GLOBAL__N_131spherical_bessel_j0_kernel_cudaERNS_18TensorIteratorBaseEENKUlvE_clEvENKUlvE_clEvEUldE_EEvS5_RKT_EUlibE_EEviT1_.has_recursion, 0
	.set _ZN2at6native32elementwise_kernel_manual_unrollILi128ELi4EZNS0_15gpu_kernel_implIZZZNS0_12_GLOBAL__N_131spherical_bessel_j0_kernel_cudaERNS_18TensorIteratorBaseEENKUlvE_clEvENKUlvE_clEvEUldE_EEvS5_RKT_EUlibE_EEviT1_.has_indirect_call, 0
	.section	.AMDGPU.csdata,"",@progbits
; Kernel info:
; codeLenInByte = 47072
; TotalNumSgprs: 30
; NumVgprs: 40
; ScratchSize: 0
; MemoryBound: 1
; FloatMode: 240
; IeeeMode: 1
; LDSByteSize: 0 bytes/workgroup (compile time only)
; SGPRBlocks: 0
; VGPRBlocks: 4
; NumSGPRsForWavesPerEU: 30
; NumVGPRsForWavesPerEU: 40
; Occupancy: 16
; WaveLimiterHint : 0
; COMPUTE_PGM_RSRC2:SCRATCH_EN: 0
; COMPUTE_PGM_RSRC2:USER_SGPR: 6
; COMPUTE_PGM_RSRC2:TRAP_HANDLER: 0
; COMPUTE_PGM_RSRC2:TGID_X_EN: 1
; COMPUTE_PGM_RSRC2:TGID_Y_EN: 0
; COMPUTE_PGM_RSRC2:TGID_Z_EN: 0
; COMPUTE_PGM_RSRC2:TIDIG_COMP_CNT: 0
	.section	.text._ZN2at6native32elementwise_kernel_manual_unrollILi128ELi4EZNS0_15gpu_kernel_implIZZZNS0_12_GLOBAL__N_131spherical_bessel_j0_kernel_cudaERNS_18TensorIteratorBaseEENKUlvE_clEvENKUlvE_clEvEUldE_EEvS5_RKT_EUlibE0_EEviT1_,"axG",@progbits,_ZN2at6native32elementwise_kernel_manual_unrollILi128ELi4EZNS0_15gpu_kernel_implIZZZNS0_12_GLOBAL__N_131spherical_bessel_j0_kernel_cudaERNS_18TensorIteratorBaseEENKUlvE_clEvENKUlvE_clEvEUldE_EEvS5_RKT_EUlibE0_EEviT1_,comdat
	.globl	_ZN2at6native32elementwise_kernel_manual_unrollILi128ELi4EZNS0_15gpu_kernel_implIZZZNS0_12_GLOBAL__N_131spherical_bessel_j0_kernel_cudaERNS_18TensorIteratorBaseEENKUlvE_clEvENKUlvE_clEvEUldE_EEvS5_RKT_EUlibE0_EEviT1_ ; -- Begin function _ZN2at6native32elementwise_kernel_manual_unrollILi128ELi4EZNS0_15gpu_kernel_implIZZZNS0_12_GLOBAL__N_131spherical_bessel_j0_kernel_cudaERNS_18TensorIteratorBaseEENKUlvE_clEvENKUlvE_clEvEUldE_EEvS5_RKT_EUlibE0_EEviT1_
	.p2align	8
	.type	_ZN2at6native32elementwise_kernel_manual_unrollILi128ELi4EZNS0_15gpu_kernel_implIZZZNS0_12_GLOBAL__N_131spherical_bessel_j0_kernel_cudaERNS_18TensorIteratorBaseEENKUlvE_clEvENKUlvE_clEvEUldE_EEvS5_RKT_EUlibE0_EEviT1_,@function
_ZN2at6native32elementwise_kernel_manual_unrollILi128ELi4EZNS0_15gpu_kernel_implIZZZNS0_12_GLOBAL__N_131spherical_bessel_j0_kernel_cudaERNS_18TensorIteratorBaseEENKUlvE_clEvENKUlvE_clEvEUldE_EEvS5_RKT_EUlibE0_EEviT1_: ; @_ZN2at6native32elementwise_kernel_manual_unrollILi128ELi4EZNS0_15gpu_kernel_implIZZZNS0_12_GLOBAL__N_131spherical_bessel_j0_kernel_cudaERNS_18TensorIteratorBaseEENKUlvE_clEvENKUlvE_clEvEUldE_EEvS5_RKT_EUlibE0_EEviT1_
; %bb.0:
	s_clause 0x1
	s_load_dword s24, s[4:5], 0x8
	s_load_dword s33, s[4:5], 0x0
	v_lshl_or_b32 v8, s6, 9, v0
	s_add_u32 s2, s4, 8
	s_addc_u32 s3, s5, 0
	s_mov_b32 s1, -1
	s_mov_b32 s26, 0
	v_or_b32_e32 v5, 0x180, v8
	s_mov_b32 s12, 0
	s_mov_b32 s0, exec_lo
	s_waitcnt lgkmcnt(0)
	s_add_i32 s25, s24, -1
	s_cmp_gt_u32 s25, 1
	s_cselect_b32 s27, -1, 0
	v_cmpx_le_i32_e64 s33, v5
	s_xor_b32 s28, exec_lo, s0
	s_cbranch_execz .LBB7_1129
; %bb.1:
	v_mov_b32_e32 v0, 0
	s_clause 0x3
	s_load_dwordx4 s[16:19], s[2:3], 0x4
	s_load_dwordx2 s[6:7], s[2:3], 0x14
	s_load_dwordx4 s[12:15], s[2:3], 0xc4
	s_load_dwordx4 s[8:11], s[2:3], 0x148
	s_cmp_lg_u32 s24, 0
	s_mov_b32 s39, 0
	s_cselect_b32 s34, -1, 0
	global_load_ushort v0, v0, s[2:3] offset:345
	s_add_u32 s20, s2, 0xc4
	s_addc_u32 s21, s3, 0
	s_min_u32 s35, s25, 15
	s_cmp_gt_u32 s24, 1
	s_mov_b32 s37, 0
	s_cselect_b32 s31, -1, 0
	s_mov_b32 s36, 0
	s_mov_b32 s38, exec_lo
	s_waitcnt vmcnt(0)
	v_readfirstlane_b32 s29, v0
	s_and_b32 s0, 0xffff, s29
	s_lshr_b32 s30, s0, 8
	v_cmpx_gt_i32_e64 s33, v8
	s_cbranch_execz .LBB7_276
; %bb.2:
	s_andn2_b32 vcc_lo, exec_lo, s27
	s_cbranch_vccnz .LBB7_7
; %bb.3:
	s_andn2_b32 vcc_lo, exec_lo, s34
	s_cbranch_vccnz .LBB7_8
; %bb.4:
	s_add_i32 s37, s35, 1
	s_cmp_eq_u32 s25, 2
	s_cbranch_scc1 .LBB7_9
; %bb.5:
	v_mov_b32_e32 v0, 0
	v_mov_b32_e32 v2, 0
	;; [unrolled: 1-line block ×3, first 2 shown]
	s_and_b32 s36, s37, 28
	s_mov_b32 s40, 0
	s_mov_b64 s[0:1], s[2:3]
	s_mov_b64 s[22:23], s[20:21]
.LBB7_6:                                ; =>This Inner Loop Header: Depth=1
	s_clause 0x1
	s_load_dwordx8 s[44:51], s[0:1], 0x4
	s_load_dwordx4 s[60:63], s[0:1], 0x24
	s_load_dwordx8 s[52:59], s[22:23], 0x0
	s_add_u32 s0, s0, 48
	s_addc_u32 s1, s1, 0
	s_add_i32 s40, s40, 4
	s_add_u32 s22, s22, 32
	s_addc_u32 s23, s23, 0
	s_cmp_lg_u32 s36, s40
	s_waitcnt lgkmcnt(0)
	v_mul_hi_u32 v3, s45, v1
	v_add_nc_u32_e32 v3, v1, v3
	v_lshrrev_b32_e32 v3, s46, v3
	v_mul_hi_u32 v4, s48, v3
	v_mul_lo_u32 v6, v3, s44
	v_add_nc_u32_e32 v4, v3, v4
	v_sub_nc_u32_e32 v1, v1, v6
	v_lshrrev_b32_e32 v4, s49, v4
	v_mul_lo_u32 v6, v1, s52
	v_mul_lo_u32 v9, v1, s53
	v_mul_hi_u32 v5, s51, v4
	v_add_nc_u32_e32 v5, v4, v5
	v_lshrrev_b32_e32 v5, s60, v5
	v_mul_hi_u32 v7, s62, v5
	v_mul_lo_u32 v10, v5, s50
	v_add_nc_u32_e32 v1, v5, v7
	v_mul_lo_u32 v7, v4, s47
	v_sub_nc_u32_e32 v4, v4, v10
	v_lshrrev_b32_e32 v1, s63, v1
	v_mul_lo_u32 v10, v4, s56
	v_mul_lo_u32 v4, v4, s57
	v_sub_nc_u32_e32 v3, v3, v7
	v_mul_lo_u32 v11, v1, s61
	v_mul_lo_u32 v7, v3, s54
	;; [unrolled: 1-line block ×3, first 2 shown]
	v_sub_nc_u32_e32 v5, v5, v11
	v_add3_u32 v2, v6, v2, v7
	v_mul_lo_u32 v11, v5, s58
	v_mul_lo_u32 v5, v5, s59
	v_add3_u32 v0, v9, v0, v3
	v_add3_u32 v2, v10, v2, v11
	;; [unrolled: 1-line block ×3, first 2 shown]
	s_cbranch_scc1 .LBB7_6
	s_branch .LBB7_10
.LBB7_7:
                                        ; implicit-def: $vgpr2
                                        ; implicit-def: $vgpr0
	s_branch .LBB7_14
.LBB7_8:
	v_mov_b32_e32 v2, 0
	v_mov_b32_e32 v0, 0
	s_branch .LBB7_13
.LBB7_9:
	v_mov_b32_e32 v2, 0
	v_mov_b32_e32 v0, 0
	;; [unrolled: 1-line block ×3, first 2 shown]
.LBB7_10:
	s_and_b32 s37, s37, 3
	s_cmp_eq_u32 s37, 0
	s_cbranch_scc1 .LBB7_13
; %bb.11:
	s_lshl_b32 s0, s36, 3
	s_mul_i32 s22, s36, 12
	s_add_u32 s0, s2, s0
	s_addc_u32 s1, s3, 0
	s_add_u32 s0, s0, 0xc4
	s_addc_u32 s1, s1, 0
	;; [unrolled: 2-line block ×3, first 2 shown]
	.p2align	6
.LBB7_12:                               ; =>This Inner Loop Header: Depth=1
	s_clause 0x1
	s_load_dwordx2 s[40:41], s[22:23], 0x4
	s_load_dword s36, s[22:23], 0xc
	s_load_dwordx2 s[42:43], s[0:1], 0x0
	s_add_u32 s22, s22, 12
	s_addc_u32 s23, s23, 0
	s_add_u32 s0, s0, 8
	s_addc_u32 s1, s1, 0
	s_add_i32 s37, s37, -1
	s_cmp_lg_u32 s37, 0
	s_waitcnt lgkmcnt(0)
	v_mul_hi_u32 v3, s41, v1
	v_add_nc_u32_e32 v3, v1, v3
	v_lshrrev_b32_e32 v4, s36, v3
	v_mul_lo_u32 v3, v4, s40
	v_sub_nc_u32_e32 v1, v1, v3
	v_mad_u64_u32 v[2:3], null, v1, s42, v[2:3]
	v_mad_u64_u32 v[0:1], null, v1, s43, v[0:1]
	v_mov_b32_e32 v1, v4
	s_cbranch_scc1 .LBB7_12
.LBB7_13:
	s_cbranch_execnz .LBB7_16
.LBB7_14:
	s_waitcnt lgkmcnt(0)
	v_mul_hi_u32 v0, s17, v8
	s_andn2_b32 vcc_lo, exec_lo, s31
	v_add_nc_u32_e32 v0, v8, v0
	v_lshrrev_b32_e32 v1, s18, v0
	v_mul_lo_u32 v0, v1, s16
	v_sub_nc_u32_e32 v0, v8, v0
	v_mul_lo_u32 v2, v0, s12
	v_mul_lo_u32 v0, v0, s13
	s_cbranch_vccnz .LBB7_16
; %bb.15:
	v_mul_hi_u32 v3, s6, v1
	v_add_nc_u32_e32 v3, v1, v3
	v_lshrrev_b32_e32 v3, s7, v3
	v_mul_lo_u32 v3, v3, s19
	v_sub_nc_u32_e32 v1, v1, v3
	v_mad_u64_u32 v[2:3], null, v1, s14, v[2:3]
	v_mad_u64_u32 v[0:1], null, v1, s15, v[0:1]
.LBB7_16:
	s_waitcnt lgkmcnt(0)
	v_add_co_u32 v0, s0, s10, v0
	v_add_co_ci_u32_e64 v1, null, s11, 0, s0
	s_and_b32 s0, 0xffff, s30
	s_cmp_lt_i32 s0, 11
	s_cbranch_scc1 .LBB7_23
; %bb.17:
	s_cmp_gt_i32 s0, 25
	s_cbranch_scc0 .LBB7_42
; %bb.18:
	s_cmp_gt_i32 s0, 28
	s_cbranch_scc0 .LBB7_45
	;; [unrolled: 3-line block ×4, first 2 shown]
; %bb.21:
	s_cmp_eq_u32 s0, 46
	s_mov_b32 s23, 0
	s_cbranch_scc0 .LBB7_51
; %bb.22:
	global_load_dword v3, v[0:1], off
	s_mov_b32 s22, -1
	s_mov_b32 s1, 0
	s_waitcnt vmcnt(0)
	v_lshlrev_b32_e32 v3, 16, v3
	v_cvt_f64_f32_e32 v[3:4], v3
	s_branch .LBB7_53
.LBB7_23:
	s_mov_b32 s1, 0
	s_mov_b32 s22, 0
                                        ; implicit-def: $vgpr3_vgpr4
	s_cbranch_execnz .LBB7_226
.LBB7_24:
	s_andn2_b32 vcc_lo, exec_lo, s22
	s_cbranch_vccnz .LBB7_273
.LBB7_25:
	v_mov_b32_e32 v0, 0
	v_mov_b32_e32 v1, 0
	s_mov_b32 s22, exec_lo
	s_waitcnt vmcnt(0)
	v_cmpx_neq_f64_e64 0x7ff00000, |v[3:4]|
	s_cbranch_execz .LBB7_35
; %bb.26:
	s_mov_b32 s23, exec_lo
                                        ; implicit-def: $vgpr0_vgpr1
	v_cmpx_nlt_f64_e64 |v[3:4]|, 0.5
	s_xor_b32 s23, exec_lo, s23
	s_cbranch_execz .LBB7_32
; %bb.27:
	v_cmp_ngt_f64_e64 s0, 0x41d00000, |v[3:4]|
                                        ; implicit-def: $vgpr7
                                        ; implicit-def: $vgpr0_vgpr1
                                        ; implicit-def: $vgpr5_vgpr6
	s_and_saveexec_b32 s36, s0
	s_xor_b32 s0, exec_lo, s36
	s_cbranch_execz .LBB7_29
; %bb.28:
	v_ldexp_f64 v[0:1], |v[3:4]|, 0xffffff80
	v_cmp_le_f64_e64 vcc_lo, 0x7b000000, |v[3:4]|
	v_trig_preop_f64 v[5:6], |v[3:4]|, 0
	v_and_b32_e32 v7, 0x7fffffff, v4
	v_trig_preop_f64 v[9:10], |v[3:4]|, 1
	v_trig_preop_f64 v[19:20], |v[3:4]|, 2
	v_mov_b32_e32 v27, 0
	s_mov_b32 s36, 0x54442d18
	s_mov_b32 s37, 0x3ff921fb
	;; [unrolled: 1-line block ×4, first 2 shown]
	v_cndmask_b32_e32 v1, v7, v1, vcc_lo
	v_cndmask_b32_e32 v0, v3, v0, vcc_lo
	v_mul_f64 v[11:12], v[5:6], v[0:1]
	v_mul_f64 v[13:14], v[9:10], v[0:1]
	;; [unrolled: 1-line block ×3, first 2 shown]
	v_fma_f64 v[5:6], v[5:6], v[0:1], -v[11:12]
	v_fma_f64 v[9:10], v[9:10], v[0:1], -v[13:14]
	v_fma_f64 v[0:1], v[19:20], v[0:1], -v[25:26]
	v_add_f64 v[15:16], v[13:14], v[5:6]
	v_add_f64 v[17:18], v[15:16], -v[13:14]
	v_add_f64 v[23:24], v[11:12], v[15:16]
	v_add_f64 v[21:22], v[15:16], -v[17:18]
	v_add_f64 v[5:6], v[5:6], -v[17:18]
	v_ldexp_f64 v[17:18], v[23:24], -2
	v_add_f64 v[11:12], v[23:24], -v[11:12]
	v_add_f64 v[13:14], v[13:14], -v[21:22]
	v_add_f64 v[21:22], v[25:26], v[9:10]
	v_cmp_neq_f64_e64 vcc_lo, 0x7ff00000, |v[17:18]|
	v_add_f64 v[11:12], v[15:16], -v[11:12]
	v_add_f64 v[5:6], v[5:6], v[13:14]
	v_fract_f64_e32 v[13:14], v[17:18]
	v_add_f64 v[15:16], v[21:22], v[5:6]
	v_ldexp_f64 v[13:14], v[13:14], 2
	v_add_f64 v[17:18], v[11:12], v[15:16]
	v_cndmask_b32_e32 v14, 0, v14, vcc_lo
	v_cndmask_b32_e32 v13, 0, v13, vcc_lo
	v_add_f64 v[23:24], v[17:18], v[13:14]
	v_add_f64 v[11:12], v[17:18], -v[11:12]
	v_cmp_gt_f64_e32 vcc_lo, 0, v[23:24]
	v_add_f64 v[23:24], v[21:22], -v[25:26]
	v_add_f64 v[11:12], v[15:16], -v[11:12]
	v_cndmask_b32_e64 v28, 0, 0x40100000, vcc_lo
	v_add_f64 v[32:33], v[21:22], -v[23:24]
	v_add_f64 v[9:10], v[9:10], -v[23:24]
	v_add_f64 v[13:14], v[13:14], v[27:28]
	v_add_f64 v[28:29], v[15:16], -v[21:22]
	v_add_f64 v[23:24], v[25:26], -v[32:33]
	v_add_f64 v[30:31], v[17:18], v[13:14]
	;; [unrolled: 3-line block ×3, first 2 shown]
	v_cvt_i32_f64_e32 v7, v[30:31]
	v_add_f64 v[21:22], v[21:22], -v[34:35]
	v_cvt_f64_i32_e32 v[28:29], v7
	v_add_f64 v[5:6], v[5:6], v[21:22]
	v_add_f64 v[13:14], v[13:14], -v[28:29]
	v_add_f64 v[5:6], v[9:10], v[5:6]
	v_add_f64 v[9:10], v[17:18], v[13:14]
	;; [unrolled: 1-line block ×3, first 2 shown]
	v_add_f64 v[5:6], v[9:10], -v[13:14]
	v_cmp_le_f64_e32 vcc_lo, 0.5, v[9:10]
	v_add_f64 v[0:1], v[11:12], v[0:1]
	v_add_f64 v[5:6], v[17:18], -v[5:6]
	v_cndmask_b32_e64 v28, 0, 0x3ff00000, vcc_lo
	v_add_co_ci_u32_e64 v7, null, 0, v7, vcc_lo
	v_add_f64 v[0:1], v[0:1], v[5:6]
	v_add_f64 v[5:6], v[9:10], -v[27:28]
	v_add_f64 v[9:10], v[5:6], v[0:1]
	v_mul_f64 v[11:12], v[9:10], s[36:37]
	v_add_f64 v[5:6], v[9:10], -v[5:6]
	v_fma_f64 v[13:14], v[9:10], s[36:37], -v[11:12]
	v_add_f64 v[0:1], v[0:1], -v[5:6]
	v_fma_f64 v[5:6], v[9:10], s[40:41], v[13:14]
	v_fma_f64 v[5:6], v[0:1], s[36:37], v[5:6]
	v_add_f64 v[0:1], v[11:12], v[5:6]
	v_add_f64 v[9:10], v[0:1], -v[11:12]
	v_add_f64 v[5:6], v[5:6], -v[9:10]
.LBB7_29:
	s_andn2_saveexec_b32 s0, s0
	s_cbranch_execz .LBB7_31
; %bb.30:
	s_mov_b32 s36, 0x6dc9c883
	s_mov_b32 s37, 0x3fe45f30
	s_mov_b32 s41, 0xbc91a626
	v_mul_f64 v[0:1], |v[3:4]|, s[36:37]
	s_mov_b32 s36, 0x54442d18
	s_mov_b32 s37, 0xbff921fb
	;; [unrolled: 1-line block ×3, first 2 shown]
	v_rndne_f64_e32 v[9:10], v[0:1]
	v_fma_f64 v[0:1], v[9:10], s[36:37], |v[3:4]|
	v_mul_f64 v[5:6], v[9:10], s[40:41]
	s_mov_b32 s36, 0x252049c0
	s_mov_b32 s37, 0xb97b839a
	v_cvt_i32_f64_e32 v7, v[9:10]
	v_fma_f64 v[13:14], v[9:10], s[40:41], v[0:1]
	v_add_f64 v[11:12], v[0:1], v[5:6]
	s_mov_b32 s41, 0x3c91a626
	v_add_f64 v[0:1], v[0:1], -v[11:12]
	v_add_f64 v[11:12], v[11:12], -v[13:14]
	v_add_f64 v[0:1], v[0:1], v[5:6]
	v_fma_f64 v[5:6], v[9:10], s[40:41], v[5:6]
	v_add_f64 v[0:1], v[11:12], v[0:1]
	v_add_f64 v[0:1], v[0:1], -v[5:6]
	v_fma_f64 v[5:6], v[9:10], s[36:37], v[0:1]
	v_add_f64 v[0:1], v[13:14], v[5:6]
	v_add_f64 v[11:12], v[0:1], -v[13:14]
	v_add_f64 v[5:6], v[5:6], -v[11:12]
.LBB7_31:
	s_or_b32 exec_lo, exec_lo, s0
	v_mul_f64 v[9:10], v[0:1], v[0:1]
	s_mov_b32 s36, 0xb42fdfa7
	s_mov_b32 s40, 0xf9a43bb8
	;; [unrolled: 1-line block ×6, first 2 shown]
	v_mul_f64 v[19:20], v[5:6], 0.5
	v_cmp_class_f64_e64 s0, v[3:4], 0x1f8
	v_fma_f64 v[11:12], v[9:10], s[40:41], s[36:37]
	s_mov_b32 s36, 0x9037ab78
	s_mov_b32 s40, 0x46cc5e42
	s_mov_b32 s37, 0x3e21eeb6
	s_mov_b32 s41, 0xbda907db
	v_mul_f64 v[15:16], v[9:10], 0.5
	v_fma_f64 v[13:14], v[9:10], s[40:41], s[36:37]
	s_mov_b32 s36, 0xa17f65f6
	s_mov_b32 s40, 0x19e83e5c
	;; [unrolled: 1-line block ×4, first 2 shown]
	v_mul_f64 v[21:22], v[0:1], -v[9:10]
	v_fma_f64 v[11:12], v[9:10], v[11:12], s[42:43]
	v_add_f64 v[17:18], -v[15:16], 1.0
	v_fma_f64 v[13:14], v[9:10], v[13:14], s[36:37]
	s_mov_b32 s36, 0x19f4ec90
	s_mov_b32 s37, 0x3efa01a0
	v_fma_f64 v[11:12], v[9:10], v[11:12], s[40:41]
	s_mov_b32 s40, 0x11110bb3
	s_mov_b32 s41, 0x3f811111
	v_add_f64 v[23:24], -v[17:18], 1.0
	v_fma_f64 v[13:14], v[9:10], v[13:14], s[36:37]
	s_mov_b32 s36, 0x16c16967
	s_mov_b32 s37, 0xbf56c16c
	v_fma_f64 v[11:12], v[9:10], v[11:12], s[40:41]
	v_add_f64 v[15:16], v[23:24], -v[15:16]
	v_fma_f64 v[13:14], v[9:10], v[13:14], s[36:37]
	s_mov_b32 s37, 0x3fa55555
	s_mov_b32 s36, 0x55555555
	v_fma_f64 v[11:12], v[21:22], v[11:12], v[19:20]
	v_mul_f64 v[19:20], v[9:10], v[9:10]
	v_fma_f64 v[15:16], v[0:1], -v[5:6], v[15:16]
	v_fma_f64 v[13:14], v[9:10], v[13:14], s[36:37]
	s_mov_b32 s37, 0xbfc55555
	v_fma_f64 v[5:6], v[9:10], v[11:12], -v[5:6]
	v_fma_f64 v[9:10], v[19:20], v[13:14], v[15:16]
	v_fma_f64 v[5:6], v[21:22], s[36:37], v[5:6]
	v_add_f64 v[9:10], v[17:18], v[9:10]
	v_add_f64 v[0:1], v[0:1], -v[5:6]
	v_and_b32_e32 v5, 1, v7
	v_cmp_eq_u32_e32 vcc_lo, 0, v5
	v_lshlrev_b32_e32 v5, 30, v7
	v_xor_b32_e32 v5, v5, v4
	v_and_b32_e32 v5, 0x80000000, v5
	v_cndmask_b32_e32 v1, v10, v1, vcc_lo
	v_cndmask_b32_e32 v0, v9, v0, vcc_lo
	v_xor_b32_e32 v1, v1, v5
	v_cndmask_b32_e64 v0, 0, v0, s0
	v_cndmask_b32_e64 v1, 0x7ff80000, v1, s0
	v_div_scale_f64 v[5:6], null, v[3:4], v[3:4], v[0:1]
	v_rcp_f64_e32 v[9:10], v[5:6]
	v_fma_f64 v[11:12], -v[5:6], v[9:10], 1.0
	v_fma_f64 v[9:10], v[9:10], v[11:12], v[9:10]
	v_fma_f64 v[11:12], -v[5:6], v[9:10], 1.0
	v_fma_f64 v[9:10], v[9:10], v[11:12], v[9:10]
	v_div_scale_f64 v[11:12], vcc_lo, v[0:1], v[3:4], v[0:1]
	v_mul_f64 v[13:14], v[11:12], v[9:10]
	v_fma_f64 v[5:6], -v[5:6], v[13:14], v[11:12]
	v_div_fmas_f64 v[5:6], v[5:6], v[9:10], v[13:14]
	v_div_fixup_f64 v[0:1], v[5:6], v[3:4], v[0:1]
                                        ; implicit-def: $vgpr3_vgpr4
.LBB7_32:
	s_andn2_saveexec_b32 s0, s23
	s_cbranch_execz .LBB7_34
; %bb.33:
	v_mul_f64 v[0:1], v[3:4], v[3:4]
	s_mov_b32 s36, 0x67f544e4
	s_mov_b32 s40, 0x13a86d09
	;; [unrolled: 1-line block ×4, first 2 shown]
	v_fma_f64 v[3:4], v[0:1], s[40:41], s[36:37]
	s_mov_b32 s36, 0xa556c734
	s_mov_b32 s37, 0x3ec71de3
	v_fma_f64 v[3:4], v[0:1], v[3:4], s[36:37]
	s_mov_b32 s36, 0x1a01a01a
	s_mov_b32 s37, 0xbf2a01a0
	;; [unrolled: 3-line block ×4, first 2 shown]
	v_fma_f64 v[3:4], v[0:1], v[3:4], s[36:37]
	v_fma_f64 v[0:1], v[0:1], v[3:4], 1.0
.LBB7_34:
	s_or_b32 exec_lo, exec_lo, s0
.LBB7_35:
	s_or_b32 exec_lo, exec_lo, s22
	v_add_co_u32 v4, s0, s8, v2
	v_add_co_ci_u32_e64 v5, null, s9, 0, s0
	s_and_b32 s22, s29, 0xff
	s_cmp_lt_i32 s22, 11
	s_cbranch_scc1 .LBB7_43
; %bb.36:
	s_and_b32 s23, 0xffff, s22
	s_cmp_gt_i32 s23, 25
	s_cbranch_scc0 .LBB7_46
; %bb.37:
	s_cmp_gt_i32 s23, 28
	s_cbranch_scc0 .LBB7_48
; %bb.38:
	;; [unrolled: 3-line block ×4, first 2 shown]
	s_mov_b32 s37, 0
	s_mov_b32 s0, -1
	s_cmp_eq_u32 s23, 46
	s_mov_b32 s36, 0
	s_cbranch_scc0 .LBB7_57
; %bb.41:
	v_cvt_f32_f64_e32 v2, v[0:1]
	s_mov_b32 s36, -1
	s_mov_b32 s0, 0
	v_bfe_u32 v3, v2, 16, 1
	v_cmp_o_f32_e32 vcc_lo, v2, v2
	v_add3_u32 v2, v2, v3, 0x7fff
	v_mov_b32_e32 v3, 0x7fc0
	v_cndmask_b32_sdwa v2, v3, v2, vcc_lo dst_sel:DWORD dst_unused:UNUSED_PAD src0_sel:DWORD src1_sel:WORD_1
	global_store_dword v[4:5], v2, off
	s_branch .LBB7_57
.LBB7_42:
	s_mov_b32 s1, 0
	s_mov_b32 s22, 0
                                        ; implicit-def: $vgpr3_vgpr4
	s_cbranch_execnz .LBB7_193
	s_branch .LBB7_225
.LBB7_43:
	s_mov_b32 s0, 0
	s_mov_b32 s36, 0
	s_cbranch_execnz .LBB7_126
.LBB7_44:
	s_andn2_b32 vcc_lo, exec_lo, s36
	s_cbranch_vccz .LBB7_164
	s_branch .LBB7_274
.LBB7_45:
	s_mov_b32 s23, -1
	s_mov_b32 s1, 0
	s_mov_b32 s22, 0
                                        ; implicit-def: $vgpr3_vgpr4
	s_branch .LBB7_172
.LBB7_46:
	s_mov_b32 s37, -1
	s_mov_b32 s0, 0
	s_mov_b32 s36, 0
	s_branch .LBB7_84
.LBB7_47:
	s_mov_b32 s23, -1
	s_mov_b32 s1, 0
	s_mov_b32 s22, 0
                                        ; implicit-def: $vgpr3_vgpr4
	s_branch .LBB7_167
.LBB7_48:
	s_mov_b32 s37, -1
	s_mov_b32 s0, 0
	s_mov_b32 s36, 0
	s_branch .LBB7_67
.LBB7_49:
	s_mov_b32 s23, -1
	s_mov_b32 s1, 0
	s_branch .LBB7_52
.LBB7_50:
	s_mov_b32 s37, -1
	s_mov_b32 s0, 0
	s_mov_b32 s36, 0
	s_branch .LBB7_63
.LBB7_51:
	s_mov_b32 s1, -1
.LBB7_52:
	s_mov_b32 s22, 0
                                        ; implicit-def: $vgpr3_vgpr4
.LBB7_53:
	s_and_b32 vcc_lo, exec_lo, s23
	s_cbranch_vccz .LBB7_166
; %bb.54:
	s_cmp_eq_u32 s0, 44
	s_cbranch_scc0 .LBB7_165
; %bb.55:
	global_load_ubyte v5, v[0:1], off
	s_mov_b32 s1, 0
	s_mov_b32 s22, -1
	s_waitcnt vmcnt(0)
	v_lshlrev_b32_e32 v3, 23, v5
	v_cmp_ne_u32_e32 vcc_lo, 0xff, v5
	v_cvt_f64_f32_e32 v[3:4], v3
	v_cndmask_b32_e32 v3, 0x20000000, v3, vcc_lo
	v_cndmask_b32_e32 v4, 0x7ff80000, v4, vcc_lo
	v_cmp_ne_u32_e32 vcc_lo, 0, v5
	v_cndmask_b32_e32 v4, 0x38000000, v4, vcc_lo
	v_cndmask_b32_e32 v3, 0, v3, vcc_lo
	s_branch .LBB7_166
.LBB7_56:
	s_mov_b32 s37, -1
	s_mov_b32 s0, 0
	s_mov_b32 s36, 0
.LBB7_57:
	s_and_b32 vcc_lo, exec_lo, s37
	s_cbranch_vccz .LBB7_62
; %bb.58:
	s_cmp_eq_u32 s23, 44
	s_mov_b32 s0, -1
	s_cbranch_scc0 .LBB7_62
; %bb.59:
	v_cvt_f32_f64_e32 v2, v[0:1]
	v_mov_b32_e32 v3, 0xff
	s_mov_b32 s36, exec_lo
	v_bfe_u32 v6, v2, 23, 8
	v_cmpx_ne_u32_e32 0xff, v6
	s_cbranch_execz .LBB7_61
; %bb.60:
	v_and_b32_e32 v3, 0x400000, v2
	v_and_or_b32 v6, 0x3fffff, v2, v6
	v_lshrrev_b32_e32 v2, 23, v2
	v_cmp_ne_u32_e32 vcc_lo, 0, v3
	v_cmp_ne_u32_e64 s0, 0, v6
	s_and_b32 s0, vcc_lo, s0
	v_cndmask_b32_e64 v3, 0, 1, s0
	v_add_nc_u32_e32 v3, v2, v3
.LBB7_61:
	s_or_b32 exec_lo, exec_lo, s36
	s_mov_b32 s36, -1
	s_mov_b32 s0, 0
	global_store_byte v[4:5], v3, off
.LBB7_62:
	s_mov_b32 s37, 0
.LBB7_63:
	s_and_b32 vcc_lo, exec_lo, s37
	s_cbranch_vccz .LBB7_66
; %bb.64:
	s_cmp_eq_u32 s23, 29
	s_mov_b32 s0, -1
	s_cbranch_scc0 .LBB7_66
; %bb.65:
	v_trunc_f64_e32 v[2:3], v[0:1]
	s_mov_b32 s36, -1
	s_mov_b32 s0, 0
	s_mov_b32 s37, 0
	v_ldexp_f64 v[6:7], v[2:3], 0xffffffe0
	v_floor_f64_e32 v[6:7], v[6:7]
	v_fma_f64 v[2:3], 0xc1f00000, v[6:7], v[2:3]
	v_cvt_u32_f64_e32 v7, v[6:7]
	v_cvt_u32_f64_e32 v6, v[2:3]
	global_store_dwordx2 v[4:5], v[6:7], off
	s_branch .LBB7_67
.LBB7_66:
	s_mov_b32 s37, 0
.LBB7_67:
	s_and_b32 vcc_lo, exec_lo, s37
	s_cbranch_vccz .LBB7_83
; %bb.68:
	s_cmp_lt_i32 s23, 27
	s_mov_b32 s36, -1
	s_cbranch_scc1 .LBB7_74
; %bb.69:
	v_cvt_u32_f64_e32 v2, v[0:1]
	s_cmp_gt_i32 s23, 27
	s_cbranch_scc0 .LBB7_71
; %bb.70:
	s_mov_b32 s36, 0
	global_store_dword v[4:5], v2, off
.LBB7_71:
	s_andn2_b32 vcc_lo, exec_lo, s36
	s_cbranch_vccnz .LBB7_73
; %bb.72:
	global_store_short v[4:5], v2, off
.LBB7_73:
	s_mov_b32 s36, 0
.LBB7_74:
	s_andn2_b32 vcc_lo, exec_lo, s36
	s_cbranch_vccnz .LBB7_82
; %bb.75:
	v_cvt_f32_f64_e32 v2, v[0:1]
	v_mov_b32_e32 v6, 0x80
	s_mov_b32 s36, exec_lo
	v_and_b32_e32 v3, 0x7fffffff, v2
	v_cmpx_gt_u32_e32 0x43800000, v3
	s_cbranch_execz .LBB7_81
; %bb.76:
	v_cmp_lt_u32_e32 vcc_lo, 0x3bffffff, v3
	s_mov_b32 s37, 0
                                        ; implicit-def: $vgpr3
	s_and_saveexec_b32 s40, vcc_lo
	s_xor_b32 s40, exec_lo, s40
	s_cbranch_execz .LBB7_327
; %bb.77:
	v_bfe_u32 v3, v2, 20, 1
	s_mov_b32 s37, exec_lo
	v_add3_u32 v3, v2, v3, 0x487ffff
	v_lshrrev_b32_e32 v3, 20, v3
	s_andn2_saveexec_b32 s40, s40
	s_cbranch_execnz .LBB7_328
.LBB7_78:
	s_or_b32 exec_lo, exec_lo, s40
	v_mov_b32_e32 v6, 0
	s_and_saveexec_b32 s40, s37
.LBB7_79:
	v_lshrrev_b32_e32 v2, 24, v2
	v_and_or_b32 v6, 0x80, v2, v3
.LBB7_80:
	s_or_b32 exec_lo, exec_lo, s40
.LBB7_81:
	s_or_b32 exec_lo, exec_lo, s36
	global_store_byte v[4:5], v6, off
.LBB7_82:
	s_mov_b32 s36, -1
.LBB7_83:
	s_mov_b32 s37, 0
.LBB7_84:
	s_and_b32 vcc_lo, exec_lo, s37
	s_cbranch_vccz .LBB7_125
; %bb.85:
	s_cmp_gt_i32 s23, 22
	s_mov_b32 s37, -1
	s_cbranch_scc0 .LBB7_117
; %bb.86:
	s_cmp_lt_i32 s23, 24
	s_mov_b32 s36, -1
	s_cbranch_scc1 .LBB7_106
; %bb.87:
	s_cmp_gt_i32 s23, 24
	s_cbranch_scc0 .LBB7_95
; %bb.88:
	v_cvt_f32_f64_e32 v2, v[0:1]
	v_mov_b32_e32 v6, 0x80
	s_mov_b32 s36, exec_lo
	v_and_b32_e32 v3, 0x7fffffff, v2
	v_cmpx_gt_u32_e32 0x47800000, v3
	s_cbranch_execz .LBB7_94
; %bb.89:
	v_cmp_lt_u32_e32 vcc_lo, 0x37ffffff, v3
	s_mov_b32 s37, 0
                                        ; implicit-def: $vgpr3
	s_and_saveexec_b32 s40, vcc_lo
	s_xor_b32 s40, exec_lo, s40
	s_cbranch_execz .LBB7_331
; %bb.90:
	v_bfe_u32 v3, v2, 21, 1
	s_mov_b32 s37, exec_lo
	v_add3_u32 v3, v2, v3, 0x88fffff
	v_lshrrev_b32_e32 v3, 21, v3
	s_andn2_saveexec_b32 s40, s40
	s_cbranch_execnz .LBB7_332
.LBB7_91:
	s_or_b32 exec_lo, exec_lo, s40
	v_mov_b32_e32 v6, 0
	s_and_saveexec_b32 s40, s37
.LBB7_92:
	v_lshrrev_b32_e32 v2, 24, v2
	v_and_or_b32 v6, 0x80, v2, v3
.LBB7_93:
	s_or_b32 exec_lo, exec_lo, s40
.LBB7_94:
	s_or_b32 exec_lo, exec_lo, s36
	s_mov_b32 s36, 0
	global_store_byte v[4:5], v6, off
.LBB7_95:
	s_and_b32 vcc_lo, exec_lo, s36
	s_cbranch_vccz .LBB7_105
; %bb.96:
	v_cvt_f32_f64_e32 v2, v[0:1]
	s_mov_b32 s36, exec_lo
                                        ; implicit-def: $vgpr3
	v_and_b32_e32 v6, 0x7fffffff, v2
	v_cmpx_gt_u32_e32 0x43f00000, v6
	s_xor_b32 s36, exec_lo, s36
	s_cbranch_execz .LBB7_102
; %bb.97:
	s_mov_b32 s37, exec_lo
                                        ; implicit-def: $vgpr3
	v_cmpx_lt_u32_e32 0x3c7fffff, v6
	s_xor_b32 s37, exec_lo, s37
; %bb.98:
	v_bfe_u32 v3, v2, 20, 1
	v_add3_u32 v3, v2, v3, 0x407ffff
	v_and_b32_e32 v6, 0xff00000, v3
	v_lshrrev_b32_e32 v3, 20, v3
	v_cmp_ne_u32_e32 vcc_lo, 0x7f00000, v6
	v_cndmask_b32_e32 v3, 0x7e, v3, vcc_lo
; %bb.99:
	s_andn2_saveexec_b32 s37, s37
; %bb.100:
	v_add_f32_e64 v3, 0x46800000, |v2|
; %bb.101:
	s_or_b32 exec_lo, exec_lo, s37
                                        ; implicit-def: $vgpr6
.LBB7_102:
	s_andn2_saveexec_b32 s36, s36
; %bb.103:
	v_mov_b32_e32 v3, 0x7f
	v_cmp_lt_u32_e32 vcc_lo, 0x7f800000, v6
	v_cndmask_b32_e32 v3, 0x7e, v3, vcc_lo
; %bb.104:
	s_or_b32 exec_lo, exec_lo, s36
	v_lshrrev_b32_e32 v2, 24, v2
	v_and_or_b32 v2, 0x80, v2, v3
	global_store_byte v[4:5], v2, off
.LBB7_105:
	s_mov_b32 s36, 0
.LBB7_106:
	s_andn2_b32 vcc_lo, exec_lo, s36
	s_cbranch_vccnz .LBB7_116
; %bb.107:
	v_cvt_f32_f64_e32 v2, v[0:1]
	s_mov_b32 s36, exec_lo
                                        ; implicit-def: $vgpr3
	v_and_b32_e32 v6, 0x7fffffff, v2
	v_cmpx_gt_u32_e32 0x47800000, v6
	s_xor_b32 s36, exec_lo, s36
	s_cbranch_execz .LBB7_113
; %bb.108:
	s_mov_b32 s37, exec_lo
                                        ; implicit-def: $vgpr3
	v_cmpx_lt_u32_e32 0x387fffff, v6
	s_xor_b32 s37, exec_lo, s37
; %bb.109:
	v_bfe_u32 v3, v2, 21, 1
	v_add3_u32 v3, v2, v3, 0x80fffff
	v_lshrrev_b32_e32 v3, 21, v3
; %bb.110:
	s_andn2_saveexec_b32 s37, s37
; %bb.111:
	v_add_f32_e64 v3, 0x43000000, |v2|
; %bb.112:
	s_or_b32 exec_lo, exec_lo, s37
                                        ; implicit-def: $vgpr6
.LBB7_113:
	s_andn2_saveexec_b32 s36, s36
; %bb.114:
	v_mov_b32_e32 v3, 0x7f
	v_cmp_lt_u32_e32 vcc_lo, 0x7f800000, v6
	v_cndmask_b32_e32 v3, 0x7c, v3, vcc_lo
; %bb.115:
	s_or_b32 exec_lo, exec_lo, s36
	v_lshrrev_b32_e32 v2, 24, v2
	v_and_or_b32 v2, 0x80, v2, v3
	global_store_byte v[4:5], v2, off
.LBB7_116:
	s_mov_b32 s37, 0
	s_mov_b32 s36, -1
.LBB7_117:
	s_andn2_b32 vcc_lo, exec_lo, s37
	s_cbranch_vccnz .LBB7_125
; %bb.118:
	s_cmp_gt_i32 s23, 14
	s_mov_b32 s37, -1
	s_cbranch_scc0 .LBB7_122
; %bb.119:
	s_cmp_eq_u32 s23, 15
	s_mov_b32 s0, -1
	s_cbranch_scc0 .LBB7_121
; %bb.120:
	v_cvt_f32_f64_e32 v2, v[0:1]
	s_mov_b32 s36, -1
	s_mov_b32 s0, 0
	v_bfe_u32 v3, v2, 16, 1
	v_cmp_o_f32_e32 vcc_lo, v2, v2
	v_add3_u32 v2, v2, v3, 0x7fff
	v_mov_b32_e32 v3, 0x7fc0
	v_cndmask_b32_sdwa v2, v3, v2, vcc_lo dst_sel:DWORD dst_unused:UNUSED_PAD src0_sel:DWORD src1_sel:WORD_1
	global_store_short v[4:5], v2, off
.LBB7_121:
	s_mov_b32 s37, 0
.LBB7_122:
	s_and_b32 vcc_lo, exec_lo, s37
	s_cbranch_vccz .LBB7_125
; %bb.123:
	s_cmp_eq_u32 s23, 11
	s_mov_b32 s0, -1
	s_cbranch_scc0 .LBB7_125
; %bb.124:
	v_cmp_neq_f64_e32 vcc_lo, 0, v[0:1]
	s_mov_b32 s36, -1
	s_mov_b32 s0, 0
	v_cndmask_b32_e64 v2, 0, 1, vcc_lo
	global_store_byte v[4:5], v2, off
.LBB7_125:
	s_branch .LBB7_44
.LBB7_126:
	s_and_b32 s22, 0xffff, s22
	s_mov_b32 s23, -1
	s_cmp_lt_i32 s22, 5
	s_cbranch_scc1 .LBB7_147
; %bb.127:
	s_cmp_lt_i32 s22, 8
	s_cbranch_scc1 .LBB7_137
; %bb.128:
	;; [unrolled: 3-line block ×3, first 2 shown]
	s_cmp_gt_i32 s22, 9
	s_cbranch_scc0 .LBB7_131
; %bb.130:
	v_mov_b32_e32 v2, 0
	s_mov_b32 s23, 0
	v_mov_b32_e32 v3, v2
	global_store_dwordx4 v[4:5], v[0:3], off
.LBB7_131:
	s_andn2_b32 vcc_lo, exec_lo, s23
	s_cbranch_vccnz .LBB7_133
; %bb.132:
	v_cvt_f32_f64_e32 v2, v[0:1]
	v_mov_b32_e32 v3, 0
	global_store_dwordx2 v[4:5], v[2:3], off
.LBB7_133:
	s_mov_b32 s23, 0
.LBB7_134:
	s_andn2_b32 vcc_lo, exec_lo, s23
	s_cbranch_vccnz .LBB7_136
; %bb.135:
	v_and_or_b32 v2, 0x1ff, v1, v0
	v_lshrrev_b32_e32 v3, 8, v1
	v_bfe_u32 v6, v1, 20, 11
	v_cmp_ne_u32_e32 vcc_lo, 0, v2
	v_sub_nc_u32_e32 v7, 0x3f1, v6
	v_add_nc_u32_e32 v6, 0xfffffc10, v6
	v_cndmask_b32_e64 v2, 0, 1, vcc_lo
	v_and_or_b32 v2, 0xffe, v3, v2
	v_med3_i32 v3, v7, 0, 13
	v_or_b32_e32 v7, 0x1000, v2
	v_lshrrev_b32_e32 v9, v3, v7
	v_lshlrev_b32_e32 v3, v3, v9
	v_cmp_ne_u32_e32 vcc_lo, v3, v7
	v_lshl_or_b32 v7, v6, 12, v2
	v_cndmask_b32_e64 v3, 0, 1, vcc_lo
	v_cmp_gt_i32_e32 vcc_lo, 1, v6
	v_or_b32_e32 v3, v9, v3
	v_cndmask_b32_e32 v3, v7, v3, vcc_lo
	v_and_b32_e32 v7, 7, v3
	v_lshrrev_b32_e32 v3, 2, v3
	v_cmp_lt_i32_e32 vcc_lo, 5, v7
	v_cndmask_b32_e64 v9, 0, 1, vcc_lo
	v_cmp_eq_u32_e32 vcc_lo, 3, v7
	v_cndmask_b32_e64 v7, 0, 1, vcc_lo
	v_cmp_ne_u32_e32 vcc_lo, 0, v2
	v_or_b32_e32 v7, v7, v9
	v_mov_b32_e32 v9, 0x7e00
	v_add_nc_u32_e32 v3, v3, v7
	v_cndmask_b32_e32 v2, 0x7c00, v9, vcc_lo
	v_cmp_gt_i32_e32 vcc_lo, 31, v6
	v_cndmask_b32_e32 v3, 0x7c00, v3, vcc_lo
	v_cmp_eq_u32_e32 vcc_lo, 0x40f, v6
	v_cndmask_b32_e32 v2, v3, v2, vcc_lo
	v_lshrrev_b32_e32 v3, 16, v1
	v_and_or_b32 v2, 0x8000, v3, v2
	v_and_b32_e32 v2, 0xffff, v2
	global_store_dword v[4:5], v2, off
.LBB7_136:
	s_mov_b32 s23, 0
.LBB7_137:
	s_andn2_b32 vcc_lo, exec_lo, s23
	s_cbranch_vccnz .LBB7_146
; %bb.138:
	s_cmp_lt_i32 s22, 6
	s_mov_b32 s23, -1
	s_cbranch_scc1 .LBB7_144
; %bb.139:
	s_cmp_gt_i32 s22, 6
	s_cbranch_scc0 .LBB7_141
; %bb.140:
	s_mov_b32 s23, 0
	global_store_dwordx2 v[4:5], v[0:1], off
.LBB7_141:
	s_andn2_b32 vcc_lo, exec_lo, s23
	s_cbranch_vccnz .LBB7_143
; %bb.142:
	v_cvt_f32_f64_e32 v2, v[0:1]
	global_store_dword v[4:5], v2, off
.LBB7_143:
	s_mov_b32 s23, 0
.LBB7_144:
	s_andn2_b32 vcc_lo, exec_lo, s23
	s_cbranch_vccnz .LBB7_146
; %bb.145:
	v_and_or_b32 v2, 0x1ff, v1, v0
	v_lshrrev_b32_e32 v3, 8, v1
	v_bfe_u32 v6, v1, 20, 11
	v_cmp_ne_u32_e32 vcc_lo, 0, v2
	v_sub_nc_u32_e32 v7, 0x3f1, v6
	v_add_nc_u32_e32 v6, 0xfffffc10, v6
	v_cndmask_b32_e64 v2, 0, 1, vcc_lo
	v_and_or_b32 v2, 0xffe, v3, v2
	v_med3_i32 v3, v7, 0, 13
	v_or_b32_e32 v7, 0x1000, v2
	v_lshrrev_b32_e32 v9, v3, v7
	v_lshlrev_b32_e32 v3, v3, v9
	v_cmp_ne_u32_e32 vcc_lo, v3, v7
	v_lshl_or_b32 v7, v6, 12, v2
	v_cndmask_b32_e64 v3, 0, 1, vcc_lo
	v_cmp_gt_i32_e32 vcc_lo, 1, v6
	v_or_b32_e32 v3, v9, v3
	v_cndmask_b32_e32 v3, v7, v3, vcc_lo
	v_and_b32_e32 v7, 7, v3
	v_lshrrev_b32_e32 v3, 2, v3
	v_cmp_lt_i32_e32 vcc_lo, 5, v7
	v_cndmask_b32_e64 v9, 0, 1, vcc_lo
	v_cmp_eq_u32_e32 vcc_lo, 3, v7
	v_cndmask_b32_e64 v7, 0, 1, vcc_lo
	v_cmp_ne_u32_e32 vcc_lo, 0, v2
	v_or_b32_e32 v7, v7, v9
	v_mov_b32_e32 v9, 0x7e00
	v_add_nc_u32_e32 v3, v3, v7
	v_cndmask_b32_e32 v2, 0x7c00, v9, vcc_lo
	v_cmp_gt_i32_e32 vcc_lo, 31, v6
	v_cndmask_b32_e32 v3, 0x7c00, v3, vcc_lo
	v_cmp_eq_u32_e32 vcc_lo, 0x40f, v6
	v_cndmask_b32_e32 v2, v3, v2, vcc_lo
	v_lshrrev_b32_e32 v3, 16, v1
	v_and_or_b32 v2, 0x8000, v3, v2
	global_store_short v[4:5], v2, off
.LBB7_146:
	s_mov_b32 s23, 0
.LBB7_147:
	s_andn2_b32 vcc_lo, exec_lo, s23
	s_cbranch_vccnz .LBB7_163
; %bb.148:
	s_cmp_lt_i32 s22, 2
	s_mov_b32 s23, -1
	s_cbranch_scc1 .LBB7_158
; %bb.149:
	s_cmp_lt_i32 s22, 3
	s_cbranch_scc1 .LBB7_155
; %bb.150:
	s_cmp_gt_i32 s22, 3
	s_cbranch_scc0 .LBB7_152
; %bb.151:
	v_trunc_f64_e32 v[2:3], v[0:1]
	s_mov_b32 s23, 0
	v_ldexp_f64 v[6:7], v[2:3], 0xffffffe0
	v_floor_f64_e32 v[6:7], v[6:7]
	v_fma_f64 v[2:3], 0xc1f00000, v[6:7], v[2:3]
	v_cvt_i32_f64_e32 v7, v[6:7]
	v_cvt_u32_f64_e32 v6, v[2:3]
	global_store_dwordx2 v[4:5], v[6:7], off
.LBB7_152:
	s_andn2_b32 vcc_lo, exec_lo, s23
	s_cbranch_vccnz .LBB7_154
; %bb.153:
	v_cvt_i32_f64_e32 v2, v[0:1]
	global_store_dword v[4:5], v2, off
.LBB7_154:
	s_mov_b32 s23, 0
.LBB7_155:
	s_andn2_b32 vcc_lo, exec_lo, s23
	s_cbranch_vccnz .LBB7_157
; %bb.156:
	v_cvt_i32_f64_e32 v2, v[0:1]
	global_store_short v[4:5], v2, off
.LBB7_157:
	s_mov_b32 s23, 0
.LBB7_158:
	s_andn2_b32 vcc_lo, exec_lo, s23
	s_cbranch_vccnz .LBB7_163
; %bb.159:
	s_cmp_gt_i32 s22, 0
	s_mov_b32 s22, -1
	s_cbranch_scc0 .LBB7_161
; %bb.160:
	v_cvt_i32_f64_e32 v2, v[0:1]
	s_mov_b32 s22, 0
	global_store_byte v[4:5], v2, off
.LBB7_161:
	s_andn2_b32 vcc_lo, exec_lo, s22
	s_cbranch_vccnz .LBB7_163
; %bb.162:
	v_trunc_f64_e32 v[0:1], v[0:1]
	v_ldexp_f64 v[2:3], v[0:1], 0xffffffe0
	v_floor_f64_e32 v[2:3], v[2:3]
	v_fma_f64 v[0:1], 0xc1f00000, v[2:3], v[0:1]
	v_cvt_u32_f64_e32 v0, v[0:1]
	global_store_byte v[4:5], v0, off
.LBB7_163:
.LBB7_164:
	v_add_nc_u32_e32 v8, 0x80, v8
	s_mov_b32 s22, -1
	s_branch .LBB7_275
.LBB7_165:
	s_mov_b32 s1, -1
                                        ; implicit-def: $vgpr3_vgpr4
.LBB7_166:
	s_mov_b32 s23, 0
.LBB7_167:
	s_and_b32 vcc_lo, exec_lo, s23
	s_cbranch_vccz .LBB7_171
; %bb.168:
	s_cmp_eq_u32 s0, 29
	s_cbranch_scc0 .LBB7_170
; %bb.169:
	global_load_dwordx2 v[3:4], v[0:1], off
	s_mov_b32 s22, -1
	s_mov_b32 s1, 0
	s_mov_b32 s23, 0
	s_waitcnt vmcnt(0)
	v_cvt_f64_u32_e32 v[4:5], v4
	v_cvt_f64_u32_e32 v[6:7], v3
	v_ldexp_f64 v[4:5], v[4:5], 32
	v_add_f64 v[3:4], v[4:5], v[6:7]
	s_branch .LBB7_172
.LBB7_170:
	s_mov_b32 s1, -1
                                        ; implicit-def: $vgpr3_vgpr4
.LBB7_171:
	s_mov_b32 s23, 0
.LBB7_172:
	s_and_b32 vcc_lo, exec_lo, s23
	s_cbranch_vccz .LBB7_192
; %bb.173:
	s_cmp_lt_i32 s0, 27
	s_cbranch_scc1 .LBB7_176
; %bb.174:
	s_cmp_gt_i32 s0, 27
	s_cbranch_scc0 .LBB7_177
; %bb.175:
	global_load_dword v3, v[0:1], off
	s_mov_b32 s22, 0
	s_waitcnt vmcnt(0)
	v_cvt_f64_u32_e32 v[3:4], v3
	s_branch .LBB7_178
.LBB7_176:
	s_mov_b32 s22, -1
                                        ; implicit-def: $vgpr3_vgpr4
	s_branch .LBB7_181
.LBB7_177:
	s_mov_b32 s22, -1
                                        ; implicit-def: $vgpr3_vgpr4
.LBB7_178:
	s_andn2_b32 vcc_lo, exec_lo, s22
	s_cbranch_vccnz .LBB7_180
; %bb.179:
	global_load_ushort v3, v[0:1], off
	s_waitcnt vmcnt(0)
	v_cvt_f64_u32_e32 v[3:4], v3
.LBB7_180:
	s_mov_b32 s22, 0
.LBB7_181:
	s_andn2_b32 vcc_lo, exec_lo, s22
	s_cbranch_vccnz .LBB7_191
; %bb.182:
	global_load_ubyte v5, v[0:1], off
	s_mov_b32 s22, 0
	s_mov_b32 s23, exec_lo
	s_waitcnt vmcnt(0)
	v_cmpx_lt_i16_e32 0x7f, v5
	s_xor_b32 s23, exec_lo, s23
	s_cbranch_execz .LBB7_186
; %bb.183:
	s_mov_b32 s22, -1
	s_mov_b32 s36, exec_lo
	v_cmpx_eq_u16_e32 0x80, v5
; %bb.184:
	s_xor_b32 s22, exec_lo, -1
; %bb.185:
	s_or_b32 exec_lo, exec_lo, s36
	s_and_b32 s22, s22, exec_lo
.LBB7_186:
	s_or_saveexec_b32 s23, s23
	v_bfrev_b32_e32 v3, 4
	v_mov_b32_e32 v4, 0x7ff80000
	s_xor_b32 exec_lo, exec_lo, s23
; %bb.187:
	v_cmp_ne_u16_e32 vcc_lo, 0, v5
	v_mov_b32_e32 v3, 0
	v_mov_b32_e32 v4, 0
	s_andn2_b32 s22, s22, exec_lo
	s_and_b32 s36, vcc_lo, exec_lo
	s_or_b32 s22, s22, s36
; %bb.188:
	s_or_b32 exec_lo, exec_lo, s23
	s_and_saveexec_b32 s23, s22
	s_cbranch_execz .LBB7_190
; %bb.189:
	v_and_b32_e32 v3, 0xffff, v5
	v_lshlrev_b32_e32 v5, 24, v5
	v_and_b32_e32 v4, 7, v3
	v_bfe_u32 v9, v3, 3, 4
	v_ffbh_u32_e32 v6, v4
	v_cmp_eq_u32_e32 vcc_lo, 0, v9
	v_min_u32_e32 v6, 32, v6
	v_subrev_nc_u32_e32 v7, 28, v6
	v_sub_nc_u32_e32 v6, 29, v6
	v_lshlrev_b32_e32 v3, v7, v3
	v_cndmask_b32_e32 v6, v9, v6, vcc_lo
	v_and_b32_e32 v3, 7, v3
	v_cndmask_b32_e32 v3, v4, v3, vcc_lo
	v_and_b32_e32 v4, 0x80000000, v5
	v_lshl_add_u32 v5, v6, 23, 0x3b800000
	v_lshlrev_b32_e32 v3, 20, v3
	v_or3_b32 v3, v4, v5, v3
	v_cvt_f64_f32_e32 v[3:4], v3
.LBB7_190:
	s_or_b32 exec_lo, exec_lo, s23
.LBB7_191:
	s_mov_b32 s22, -1
.LBB7_192:
	s_branch .LBB7_225
.LBB7_193:
	s_cmp_gt_i32 s0, 22
	s_cbranch_scc0 .LBB7_205
; %bb.194:
	s_cmp_lt_i32 s0, 24
	s_cbranch_scc1 .LBB7_206
; %bb.195:
	s_cmp_gt_i32 s0, 24
	s_cbranch_scc0 .LBB7_207
; %bb.196:
	global_load_ubyte v5, v[0:1], off
	s_mov_b32 s22, 0
	s_mov_b32 s23, exec_lo
	s_waitcnt vmcnt(0)
	v_cmpx_lt_i16_e32 0x7f, v5
	s_xor_b32 s23, exec_lo, s23
	s_cbranch_execz .LBB7_200
; %bb.197:
	s_mov_b32 s22, -1
	s_mov_b32 s36, exec_lo
	v_cmpx_eq_u16_e32 0x80, v5
; %bb.198:
	s_xor_b32 s22, exec_lo, -1
; %bb.199:
	s_or_b32 exec_lo, exec_lo, s36
	s_and_b32 s22, s22, exec_lo
.LBB7_200:
	s_or_saveexec_b32 s23, s23
	v_bfrev_b32_e32 v3, 4
	v_mov_b32_e32 v4, 0x7ff80000
	s_xor_b32 exec_lo, exec_lo, s23
; %bb.201:
	v_cmp_ne_u16_e32 vcc_lo, 0, v5
	v_mov_b32_e32 v3, 0
	v_mov_b32_e32 v4, 0
	s_andn2_b32 s22, s22, exec_lo
	s_and_b32 s36, vcc_lo, exec_lo
	s_or_b32 s22, s22, s36
; %bb.202:
	s_or_b32 exec_lo, exec_lo, s23
	s_and_saveexec_b32 s23, s22
	s_cbranch_execz .LBB7_204
; %bb.203:
	v_and_b32_e32 v3, 0xffff, v5
	v_lshlrev_b32_e32 v5, 24, v5
	v_and_b32_e32 v4, 3, v3
	v_bfe_u32 v9, v3, 2, 5
	v_ffbh_u32_e32 v6, v4
	v_cmp_eq_u32_e32 vcc_lo, 0, v9
	v_min_u32_e32 v6, 32, v6
	v_subrev_nc_u32_e32 v7, 29, v6
	v_sub_nc_u32_e32 v6, 30, v6
	v_lshlrev_b32_e32 v3, v7, v3
	v_cndmask_b32_e32 v6, v9, v6, vcc_lo
	v_and_b32_e32 v3, 3, v3
	v_cndmask_b32_e32 v3, v4, v3, vcc_lo
	v_and_b32_e32 v4, 0x80000000, v5
	v_lshl_add_u32 v5, v6, 23, 0x37800000
	v_lshlrev_b32_e32 v3, 21, v3
	v_or3_b32 v3, v4, v5, v3
	v_cvt_f64_f32_e32 v[3:4], v3
.LBB7_204:
	s_or_b32 exec_lo, exec_lo, s23
	s_mov_b32 s22, 0
	s_branch .LBB7_208
.LBB7_205:
	s_mov_b32 s23, -1
                                        ; implicit-def: $vgpr3_vgpr4
	s_branch .LBB7_214
.LBB7_206:
	s_mov_b32 s22, -1
                                        ; implicit-def: $vgpr3_vgpr4
	s_branch .LBB7_211
.LBB7_207:
	s_mov_b32 s22, -1
                                        ; implicit-def: $vgpr3_vgpr4
.LBB7_208:
	s_and_b32 vcc_lo, exec_lo, s22
	s_cbranch_vccz .LBB7_210
; %bb.209:
	global_load_ubyte v3, v[0:1], off
	s_waitcnt vmcnt(0)
	v_lshlrev_b32_e32 v3, 24, v3
	v_and_b32_e32 v4, 0x7f000000, v3
	v_ffbh_u32_e32 v5, v4
	v_add_nc_u32_e32 v7, 0x1000000, v4
	v_cmp_ne_u32_e32 vcc_lo, 0, v4
	v_min_u32_e32 v5, 32, v5
	v_sub_nc_u32_e64 v5, v5, 4 clamp
	v_lshlrev_b32_e32 v6, v5, v4
	v_lshlrev_b32_e32 v5, 23, v5
	v_lshrrev_b32_e32 v6, 4, v6
	v_sub_nc_u32_e32 v5, v6, v5
	v_ashrrev_i32_e32 v6, 8, v7
	v_add_nc_u32_e32 v5, 0x3c000000, v5
	v_and_or_b32 v5, 0x7f800000, v6, v5
	v_cndmask_b32_e32 v4, 0, v5, vcc_lo
	v_and_or_b32 v3, 0x80000000, v3, v4
	v_cvt_f64_f32_e32 v[3:4], v3
.LBB7_210:
	s_mov_b32 s22, 0
.LBB7_211:
	s_andn2_b32 vcc_lo, exec_lo, s22
	s_cbranch_vccnz .LBB7_213
; %bb.212:
	global_load_ubyte v3, v[0:1], off
	s_waitcnt vmcnt(0)
	v_lshlrev_b32_e32 v4, 25, v3
	v_lshlrev_b16 v3, 8, v3
	v_lshrrev_b32_e32 v5, 4, v4
	v_and_or_b32 v6, 0x7f00, v3, 0.5
	v_cmp_gt_u32_e32 vcc_lo, 0x8000000, v4
	v_bfe_i32 v3, v3, 0, 16
	v_or_b32_e32 v5, 0x70000000, v5
	v_add_f32_e32 v6, -0.5, v6
	v_mul_f32_e32 v5, 0x7800000, v5
	v_cndmask_b32_e32 v4, v5, v6, vcc_lo
	v_and_or_b32 v3, 0x80000000, v3, v4
	v_cvt_f64_f32_e32 v[3:4], v3
.LBB7_213:
	s_mov_b32 s23, 0
	s_mov_b32 s22, -1
.LBB7_214:
	s_andn2_b32 vcc_lo, exec_lo, s23
	s_cbranch_vccnz .LBB7_225
; %bb.215:
	s_cmp_gt_i32 s0, 14
	s_cbranch_scc0 .LBB7_218
; %bb.216:
	s_cmp_eq_u32 s0, 15
	s_cbranch_scc0 .LBB7_219
; %bb.217:
	global_load_ushort v3, v[0:1], off
	s_mov_b32 s22, -1
	s_mov_b32 s1, 0
	s_waitcnt vmcnt(0)
	v_lshlrev_b32_e32 v3, 16, v3
	v_cvt_f64_f32_e32 v[3:4], v3
	s_branch .LBB7_220
.LBB7_218:
	s_mov_b32 s23, -1
                                        ; implicit-def: $vgpr3_vgpr4
	s_branch .LBB7_221
.LBB7_219:
	s_mov_b32 s1, -1
                                        ; implicit-def: $vgpr3_vgpr4
.LBB7_220:
	s_mov_b32 s23, 0
.LBB7_221:
	s_and_b32 vcc_lo, exec_lo, s23
	s_cbranch_vccz .LBB7_225
; %bb.222:
	s_cmp_eq_u32 s0, 11
	s_cbranch_scc0 .LBB7_224
; %bb.223:
	global_load_ubyte v3, v[0:1], off
	s_mov_b32 s1, 0
	s_mov_b32 s22, -1
	s_waitcnt vmcnt(0)
	v_cmp_ne_u16_e32 vcc_lo, 0, v3
	v_mov_b32_e32 v3, 0
	v_cndmask_b32_e64 v4, 0, 0x3ff00000, vcc_lo
	s_branch .LBB7_225
.LBB7_224:
	s_mov_b32 s1, -1
                                        ; implicit-def: $vgpr3_vgpr4
.LBB7_225:
	s_branch .LBB7_24
.LBB7_226:
	s_cmp_lt_i32 s0, 5
	s_cbranch_scc1 .LBB7_231
; %bb.227:
	s_cmp_lt_i32 s0, 8
	s_cbranch_scc1 .LBB7_232
; %bb.228:
	;; [unrolled: 3-line block ×3, first 2 shown]
	s_cmp_gt_i32 s0, 9
	s_cbranch_scc0 .LBB7_234
; %bb.230:
	global_load_dwordx2 v[3:4], v[0:1], off
	s_mov_b32 s22, 0
	s_branch .LBB7_235
.LBB7_231:
                                        ; implicit-def: $vgpr3_vgpr4
	s_branch .LBB7_253
.LBB7_232:
	s_mov_b32 s22, -1
                                        ; implicit-def: $vgpr3_vgpr4
	s_branch .LBB7_241
.LBB7_233:
	s_mov_b32 s22, -1
                                        ; implicit-def: $vgpr3_vgpr4
	s_branch .LBB7_238
.LBB7_234:
	s_mov_b32 s22, -1
                                        ; implicit-def: $vgpr3_vgpr4
.LBB7_235:
	s_andn2_b32 vcc_lo, exec_lo, s22
	s_cbranch_vccnz .LBB7_237
; %bb.236:
	global_load_dword v3, v[0:1], off
	s_waitcnt vmcnt(0)
	v_cvt_f64_f32_e32 v[3:4], v3
.LBB7_237:
	s_mov_b32 s22, 0
.LBB7_238:
	s_andn2_b32 vcc_lo, exec_lo, s22
	s_cbranch_vccnz .LBB7_240
; %bb.239:
	global_load_dword v3, v[0:1], off
	s_waitcnt vmcnt(0)
	v_cvt_f32_f16_e32 v3, v3
	v_cvt_f64_f32_e32 v[3:4], v3
.LBB7_240:
	s_mov_b32 s22, 0
.LBB7_241:
	s_andn2_b32 vcc_lo, exec_lo, s22
	s_cbranch_vccnz .LBB7_252
; %bb.242:
	s_cmp_lt_i32 s0, 6
	s_cbranch_scc1 .LBB7_245
; %bb.243:
	s_cmp_gt_i32 s0, 6
	s_cbranch_scc0 .LBB7_246
; %bb.244:
	global_load_dwordx2 v[3:4], v[0:1], off
	s_mov_b32 s22, 0
	s_branch .LBB7_247
.LBB7_245:
	s_mov_b32 s22, -1
                                        ; implicit-def: $vgpr3_vgpr4
	s_branch .LBB7_250
.LBB7_246:
	s_mov_b32 s22, -1
                                        ; implicit-def: $vgpr3_vgpr4
.LBB7_247:
	s_andn2_b32 vcc_lo, exec_lo, s22
	s_cbranch_vccnz .LBB7_249
; %bb.248:
	global_load_dword v3, v[0:1], off
	s_waitcnt vmcnt(0)
	v_cvt_f64_f32_e32 v[3:4], v3
.LBB7_249:
	s_mov_b32 s22, 0
.LBB7_250:
	s_andn2_b32 vcc_lo, exec_lo, s22
	s_cbranch_vccnz .LBB7_252
; %bb.251:
	global_load_ushort v3, v[0:1], off
	s_waitcnt vmcnt(0)
	v_cvt_f32_f16_e32 v3, v3
	v_cvt_f64_f32_e32 v[3:4], v3
.LBB7_252:
	s_cbranch_execnz .LBB7_272
.LBB7_253:
	s_cmp_lt_i32 s0, 2
	s_cbranch_scc1 .LBB7_257
; %bb.254:
	s_cmp_lt_i32 s0, 3
	s_cbranch_scc1 .LBB7_258
; %bb.255:
	s_cmp_gt_i32 s0, 3
	s_cbranch_scc0 .LBB7_259
; %bb.256:
	global_load_dwordx2 v[3:4], v[0:1], off
	s_mov_b32 s22, 0
	s_waitcnt vmcnt(0)
	v_cvt_f64_i32_e32 v[4:5], v4
	v_cvt_f64_u32_e32 v[6:7], v3
	v_ldexp_f64 v[4:5], v[4:5], 32
	v_add_f64 v[3:4], v[4:5], v[6:7]
	s_branch .LBB7_260
.LBB7_257:
	s_mov_b32 s22, -1
                                        ; implicit-def: $vgpr3_vgpr4
	s_branch .LBB7_266
.LBB7_258:
	s_mov_b32 s22, -1
                                        ; implicit-def: $vgpr3_vgpr4
	s_branch .LBB7_263
.LBB7_259:
	s_mov_b32 s22, -1
                                        ; implicit-def: $vgpr3_vgpr4
.LBB7_260:
	s_andn2_b32 vcc_lo, exec_lo, s22
	s_cbranch_vccnz .LBB7_262
; %bb.261:
	global_load_dword v3, v[0:1], off
	s_waitcnt vmcnt(0)
	v_cvt_f64_i32_e32 v[3:4], v3
.LBB7_262:
	s_mov_b32 s22, 0
.LBB7_263:
	s_andn2_b32 vcc_lo, exec_lo, s22
	s_cbranch_vccnz .LBB7_265
; %bb.264:
	global_load_sshort v3, v[0:1], off
	s_waitcnt vmcnt(0)
	v_cvt_f64_i32_e32 v[3:4], v3
.LBB7_265:
	s_mov_b32 s22, 0
.LBB7_266:
	s_andn2_b32 vcc_lo, exec_lo, s22
	s_cbranch_vccnz .LBB7_272
; %bb.267:
	s_cmp_gt_i32 s0, 0
	s_mov_b32 s0, 0
	s_cbranch_scc0 .LBB7_269
; %bb.268:
	global_load_sbyte v3, v[0:1], off
	s_waitcnt vmcnt(0)
	v_cvt_f64_i32_e32 v[3:4], v3
	s_branch .LBB7_270
.LBB7_269:
	s_mov_b32 s0, -1
                                        ; implicit-def: $vgpr3_vgpr4
.LBB7_270:
	s_andn2_b32 vcc_lo, exec_lo, s0
	s_cbranch_vccnz .LBB7_272
; %bb.271:
	global_load_ubyte v0, v[0:1], off
	s_waitcnt vmcnt(0)
	v_cvt_f64_u32_e32 v[3:4], v0
.LBB7_272:
	s_branch .LBB7_25
.LBB7_273:
	s_mov_b32 s0, 0
.LBB7_274:
	s_mov_b32 s22, 0
                                        ; implicit-def: $vgpr8
.LBB7_275:
	s_and_b32 s36, s0, exec_lo
	s_and_b32 s37, s1, exec_lo
	s_orn2_b32 s1, s22, exec_lo
.LBB7_276:
	s_or_b32 exec_lo, exec_lo, s38
	s_mov_b32 s22, 0
	s_mov_b32 s0, 0
                                        ; implicit-def: $vgpr0_vgpr1
                                        ; implicit-def: $vgpr2
                                        ; implicit-def: $vgpr3_vgpr4
	s_and_saveexec_b32 s38, s1
	s_cbranch_execz .LBB7_283
; %bb.277:
	s_mov_b32 s0, -1
	s_mov_b32 s39, s37
	s_mov_b32 s40, s36
	s_mov_b32 s41, exec_lo
	v_cmpx_gt_i32_e64 s33, v8
	s_cbranch_execz .LBB7_563
; %bb.278:
	s_andn2_b32 vcc_lo, exec_lo, s27
	s_cbranch_vccnz .LBB7_286
; %bb.279:
	s_andn2_b32 vcc_lo, exec_lo, s34
	s_cbranch_vccnz .LBB7_287
; %bb.280:
	s_add_i32 s40, s35, 1
	s_cmp_eq_u32 s25, 2
	s_cbranch_scc1 .LBB7_288
; %bb.281:
	v_mov_b32_e32 v0, 0
	v_mov_b32_e32 v2, 0
	v_mov_b32_e32 v1, v8
	s_and_b32 s39, s40, 28
	s_mov_b32 s42, 0
	s_mov_b64 s[0:1], s[2:3]
	s_mov_b64 s[22:23], s[20:21]
.LBB7_282:                              ; =>This Inner Loop Header: Depth=1
	s_clause 0x1
	s_load_dwordx8 s[44:51], s[0:1], 0x4
	s_load_dwordx4 s[60:63], s[0:1], 0x24
	s_load_dwordx8 s[52:59], s[22:23], 0x0
	s_add_u32 s0, s0, 48
	s_addc_u32 s1, s1, 0
	s_add_i32 s42, s42, 4
	s_add_u32 s22, s22, 32
	s_addc_u32 s23, s23, 0
	s_cmp_eq_u32 s39, s42
	s_waitcnt vmcnt(0) lgkmcnt(0)
	v_mul_hi_u32 v3, s45, v1
	v_add_nc_u32_e32 v3, v1, v3
	v_lshrrev_b32_e32 v3, s46, v3
	v_mul_hi_u32 v4, s48, v3
	v_mul_lo_u32 v6, v3, s44
	v_add_nc_u32_e32 v4, v3, v4
	v_sub_nc_u32_e32 v1, v1, v6
	v_lshrrev_b32_e32 v4, s49, v4
	v_mul_lo_u32 v6, v1, s52
	v_mul_lo_u32 v9, v1, s53
	v_mul_hi_u32 v5, s51, v4
	v_add_nc_u32_e32 v5, v4, v5
	v_lshrrev_b32_e32 v5, s60, v5
	v_mul_hi_u32 v7, s62, v5
	v_mul_lo_u32 v10, v5, s50
	v_add_nc_u32_e32 v1, v5, v7
	v_mul_lo_u32 v7, v4, s47
	v_sub_nc_u32_e32 v4, v4, v10
	v_lshrrev_b32_e32 v1, s63, v1
	v_mul_lo_u32 v10, v4, s56
	v_mul_lo_u32 v4, v4, s57
	v_sub_nc_u32_e32 v3, v3, v7
	v_mul_lo_u32 v11, v1, s61
	v_mul_lo_u32 v7, v3, s54
	;; [unrolled: 1-line block ×3, first 2 shown]
	v_sub_nc_u32_e32 v5, v5, v11
	v_add3_u32 v2, v6, v2, v7
	v_mul_lo_u32 v11, v5, s58
	v_mul_lo_u32 v5, v5, s59
	v_add3_u32 v0, v9, v0, v3
	v_add3_u32 v2, v10, v2, v11
	;; [unrolled: 1-line block ×3, first 2 shown]
	s_cbranch_scc0 .LBB7_282
	s_branch .LBB7_289
.LBB7_283:
	s_or_b32 exec_lo, exec_lo, s38
	s_mov_b32 s1, 0
	s_waitcnt lgkmcnt(0)
	s_and_saveexec_b32 s6, s37
	s_cbranch_execnz .LBB7_951
.LBB7_284:
	s_or_b32 exec_lo, exec_lo, s6
	s_and_saveexec_b32 s6, s39
	s_xor_b32 s6, exec_lo, s6
	s_cbranch_execz .LBB7_952
.LBB7_285:
	global_load_ubyte v3, v[0:1], off
	s_or_b32 s0, s0, exec_lo
	s_waitcnt vmcnt(0)
	v_cmp_ne_u16_e32 vcc_lo, 0, v3
	v_mov_b32_e32 v3, 0
	v_cndmask_b32_e64 v4, 0, 0x3ff00000, vcc_lo
	s_or_b32 exec_lo, exec_lo, s6
	s_and_saveexec_b32 s6, s22
	s_cbranch_execz .LBB7_998
	s_branch .LBB7_953
.LBB7_286:
                                        ; implicit-def: $vgpr2
                                        ; implicit-def: $vgpr0
	s_andn2_b32 vcc_lo, exec_lo, s0
	s_cbranch_vccz .LBB7_293
	s_branch .LBB7_295
.LBB7_287:
	v_mov_b32_e32 v2, 0
	v_mov_b32_e32 v0, 0
	s_branch .LBB7_292
.LBB7_288:
	v_mov_b32_e32 v2, 0
	v_mov_b32_e32 v0, 0
	;; [unrolled: 1-line block ×3, first 2 shown]
	s_mov_b32 s39, 0
.LBB7_289:
	s_and_b32 s40, s40, 3
	s_cmp_eq_u32 s40, 0
	s_cbranch_scc1 .LBB7_292
; %bb.290:
	s_lshl_b32 s0, s39, 3
	s_mul_i32 s22, s39, 12
	s_add_u32 s0, s2, s0
	s_addc_u32 s1, s3, 0
	s_add_u32 s0, s0, 0xc4
	s_addc_u32 s1, s1, 0
	;; [unrolled: 2-line block ×3, first 2 shown]
	.p2align	6
.LBB7_291:                              ; =>This Inner Loop Header: Depth=1
	s_clause 0x1
	s_load_dwordx2 s[42:43], s[22:23], 0x4
	s_load_dword s39, s[22:23], 0xc
	s_load_dwordx2 s[44:45], s[0:1], 0x0
	s_add_u32 s22, s22, 12
	s_addc_u32 s23, s23, 0
	s_add_u32 s0, s0, 8
	s_addc_u32 s1, s1, 0
	s_add_i32 s40, s40, -1
	s_cmp_lg_u32 s40, 0
	s_waitcnt vmcnt(0) lgkmcnt(0)
	v_mul_hi_u32 v3, s43, v1
	v_add_nc_u32_e32 v3, v1, v3
	v_lshrrev_b32_e32 v4, s39, v3
	v_mul_lo_u32 v3, v4, s42
	v_sub_nc_u32_e32 v1, v1, v3
	v_mad_u64_u32 v[2:3], null, v1, s44, v[2:3]
	v_mad_u64_u32 v[0:1], null, v1, s45, v[0:1]
	v_mov_b32_e32 v1, v4
	s_cbranch_scc1 .LBB7_291
.LBB7_292:
	s_cbranch_execnz .LBB7_295
.LBB7_293:
	s_waitcnt lgkmcnt(0)
	v_mul_hi_u32 v0, s17, v8
	s_andn2_b32 vcc_lo, exec_lo, s31
	v_add_nc_u32_e32 v0, v8, v0
	v_lshrrev_b32_e32 v1, s18, v0
	v_mul_lo_u32 v0, v1, s16
	v_sub_nc_u32_e32 v0, v8, v0
	v_mul_lo_u32 v2, v0, s12
	v_mul_lo_u32 v0, v0, s13
	s_cbranch_vccnz .LBB7_295
; %bb.294:
	s_waitcnt vmcnt(0)
	v_mul_hi_u32 v3, s6, v1
	v_add_nc_u32_e32 v3, v1, v3
	v_lshrrev_b32_e32 v3, s7, v3
	v_mul_lo_u32 v3, v3, s19
	v_sub_nc_u32_e32 v1, v1, v3
	v_mad_u64_u32 v[2:3], null, v1, s14, v[2:3]
	v_mad_u64_u32 v[0:1], null, v1, s15, v[0:1]
.LBB7_295:
	s_waitcnt lgkmcnt(0)
	v_add_co_u32 v0, s0, s10, v0
	v_add_co_ci_u32_e64 v1, null, s11, 0, s0
	s_and_b32 s0, 0xffff, s30
	s_cmp_lt_i32 s0, 11
	s_cbranch_scc1 .LBB7_302
; %bb.296:
	s_cmp_gt_i32 s0, 25
	s_cbranch_scc0 .LBB7_321
; %bb.297:
	s_cmp_gt_i32 s0, 28
	s_cbranch_scc0 .LBB7_323
	;; [unrolled: 3-line block ×4, first 2 shown]
; %bb.300:
	s_cmp_eq_u32 s0, 46
	s_mov_b32 s23, 0
	s_cbranch_scc0 .LBB7_333
; %bb.301:
	global_load_dword v3, v[0:1], off
	s_mov_b32 s22, -1
	s_mov_b32 s1, 0
	s_waitcnt vmcnt(0)
	v_lshlrev_b32_e32 v3, 16, v3
	v_cvt_f64_f32_e32 v[3:4], v3
	s_branch .LBB7_335
.LBB7_302:
	s_mov_b32 s22, 0
	s_mov_b32 s1, s37
                                        ; implicit-def: $vgpr3_vgpr4
	s_cbranch_execnz .LBB7_512
.LBB7_303:
	s_andn2_b32 vcc_lo, exec_lo, s22
	s_cbranch_vccnz .LBB7_560
.LBB7_304:
	v_mov_b32_e32 v0, 0
	v_mov_b32_e32 v1, 0
	s_mov_b32 s22, exec_lo
	s_waitcnt vmcnt(0)
	v_cmpx_neq_f64_e64 0x7ff00000, |v[3:4]|
	s_cbranch_execz .LBB7_314
; %bb.305:
	s_mov_b32 s23, exec_lo
                                        ; implicit-def: $vgpr0_vgpr1
	v_cmpx_nlt_f64_e64 |v[3:4]|, 0.5
	s_xor_b32 s23, exec_lo, s23
	s_cbranch_execz .LBB7_311
; %bb.306:
	v_cmp_ngt_f64_e64 s0, 0x41d00000, |v[3:4]|
                                        ; implicit-def: $vgpr7
                                        ; implicit-def: $vgpr0_vgpr1
                                        ; implicit-def: $vgpr5_vgpr6
	s_and_saveexec_b32 s39, s0
	s_xor_b32 s0, exec_lo, s39
	s_cbranch_execz .LBB7_308
; %bb.307:
	v_ldexp_f64 v[0:1], |v[3:4]|, 0xffffff80
	v_cmp_le_f64_e64 vcc_lo, 0x7b000000, |v[3:4]|
	v_trig_preop_f64 v[5:6], |v[3:4]|, 0
	v_and_b32_e32 v7, 0x7fffffff, v4
	v_trig_preop_f64 v[9:10], |v[3:4]|, 1
	v_trig_preop_f64 v[19:20], |v[3:4]|, 2
	v_mov_b32_e32 v27, 0
	s_mov_b32 s42, 0x54442d18
	s_mov_b32 s43, 0x3ff921fb
	;; [unrolled: 1-line block ×4, first 2 shown]
	v_cndmask_b32_e32 v1, v7, v1, vcc_lo
	v_cndmask_b32_e32 v0, v3, v0, vcc_lo
	v_mul_f64 v[11:12], v[5:6], v[0:1]
	v_mul_f64 v[13:14], v[9:10], v[0:1]
	;; [unrolled: 1-line block ×3, first 2 shown]
	v_fma_f64 v[5:6], v[5:6], v[0:1], -v[11:12]
	v_fma_f64 v[9:10], v[9:10], v[0:1], -v[13:14]
	v_fma_f64 v[0:1], v[19:20], v[0:1], -v[25:26]
	v_add_f64 v[15:16], v[13:14], v[5:6]
	v_add_f64 v[17:18], v[15:16], -v[13:14]
	v_add_f64 v[23:24], v[11:12], v[15:16]
	v_add_f64 v[21:22], v[15:16], -v[17:18]
	v_add_f64 v[5:6], v[5:6], -v[17:18]
	v_ldexp_f64 v[17:18], v[23:24], -2
	v_add_f64 v[11:12], v[23:24], -v[11:12]
	v_add_f64 v[13:14], v[13:14], -v[21:22]
	v_add_f64 v[21:22], v[25:26], v[9:10]
	v_cmp_neq_f64_e64 vcc_lo, 0x7ff00000, |v[17:18]|
	v_add_f64 v[11:12], v[15:16], -v[11:12]
	v_add_f64 v[5:6], v[5:6], v[13:14]
	v_fract_f64_e32 v[13:14], v[17:18]
	v_add_f64 v[15:16], v[21:22], v[5:6]
	v_ldexp_f64 v[13:14], v[13:14], 2
	v_add_f64 v[17:18], v[11:12], v[15:16]
	v_cndmask_b32_e32 v14, 0, v14, vcc_lo
	v_cndmask_b32_e32 v13, 0, v13, vcc_lo
	v_add_f64 v[23:24], v[17:18], v[13:14]
	v_add_f64 v[11:12], v[17:18], -v[11:12]
	v_cmp_gt_f64_e32 vcc_lo, 0, v[23:24]
	v_add_f64 v[23:24], v[21:22], -v[25:26]
	v_add_f64 v[11:12], v[15:16], -v[11:12]
	v_cndmask_b32_e64 v28, 0, 0x40100000, vcc_lo
	v_add_f64 v[32:33], v[21:22], -v[23:24]
	v_add_f64 v[9:10], v[9:10], -v[23:24]
	v_add_f64 v[13:14], v[13:14], v[27:28]
	v_add_f64 v[28:29], v[15:16], -v[21:22]
	v_add_f64 v[23:24], v[25:26], -v[32:33]
	v_add_f64 v[30:31], v[17:18], v[13:14]
	;; [unrolled: 3-line block ×3, first 2 shown]
	v_cvt_i32_f64_e32 v7, v[30:31]
	v_add_f64 v[21:22], v[21:22], -v[34:35]
	v_cvt_f64_i32_e32 v[28:29], v7
	v_add_f64 v[5:6], v[5:6], v[21:22]
	v_add_f64 v[13:14], v[13:14], -v[28:29]
	v_add_f64 v[5:6], v[9:10], v[5:6]
	v_add_f64 v[9:10], v[17:18], v[13:14]
	;; [unrolled: 1-line block ×3, first 2 shown]
	v_add_f64 v[5:6], v[9:10], -v[13:14]
	v_cmp_le_f64_e32 vcc_lo, 0.5, v[9:10]
	v_add_f64 v[0:1], v[11:12], v[0:1]
	v_add_f64 v[5:6], v[17:18], -v[5:6]
	v_cndmask_b32_e64 v28, 0, 0x3ff00000, vcc_lo
	v_add_co_ci_u32_e64 v7, null, 0, v7, vcc_lo
	v_add_f64 v[0:1], v[0:1], v[5:6]
	v_add_f64 v[5:6], v[9:10], -v[27:28]
	v_add_f64 v[9:10], v[5:6], v[0:1]
	v_mul_f64 v[11:12], v[9:10], s[42:43]
	v_add_f64 v[5:6], v[9:10], -v[5:6]
	v_fma_f64 v[13:14], v[9:10], s[42:43], -v[11:12]
	v_add_f64 v[0:1], v[0:1], -v[5:6]
	v_fma_f64 v[5:6], v[9:10], s[44:45], v[13:14]
	v_fma_f64 v[5:6], v[0:1], s[42:43], v[5:6]
	v_add_f64 v[0:1], v[11:12], v[5:6]
	v_add_f64 v[9:10], v[0:1], -v[11:12]
	v_add_f64 v[5:6], v[5:6], -v[9:10]
.LBB7_308:
	s_andn2_saveexec_b32 s0, s0
	s_cbranch_execz .LBB7_310
; %bb.309:
	s_mov_b32 s42, 0x6dc9c883
	s_mov_b32 s43, 0x3fe45f30
	;; [unrolled: 1-line block ×3, first 2 shown]
	v_mul_f64 v[0:1], |v[3:4]|, s[42:43]
	s_mov_b32 s42, 0x54442d18
	s_mov_b32 s43, 0xbff921fb
	;; [unrolled: 1-line block ×3, first 2 shown]
	v_rndne_f64_e32 v[9:10], v[0:1]
	v_fma_f64 v[0:1], v[9:10], s[42:43], |v[3:4]|
	v_mul_f64 v[5:6], v[9:10], s[44:45]
	s_mov_b32 s42, 0x252049c0
	s_mov_b32 s43, 0xb97b839a
	v_cvt_i32_f64_e32 v7, v[9:10]
	v_fma_f64 v[13:14], v[9:10], s[44:45], v[0:1]
	v_add_f64 v[11:12], v[0:1], v[5:6]
	s_mov_b32 s45, 0x3c91a626
	v_add_f64 v[0:1], v[0:1], -v[11:12]
	v_add_f64 v[11:12], v[11:12], -v[13:14]
	v_add_f64 v[0:1], v[0:1], v[5:6]
	v_fma_f64 v[5:6], v[9:10], s[44:45], v[5:6]
	v_add_f64 v[0:1], v[11:12], v[0:1]
	v_add_f64 v[0:1], v[0:1], -v[5:6]
	v_fma_f64 v[5:6], v[9:10], s[42:43], v[0:1]
	v_add_f64 v[0:1], v[13:14], v[5:6]
	v_add_f64 v[11:12], v[0:1], -v[13:14]
	v_add_f64 v[5:6], v[5:6], -v[11:12]
.LBB7_310:
	s_or_b32 exec_lo, exec_lo, s0
	v_mul_f64 v[9:10], v[0:1], v[0:1]
	s_mov_b32 s42, 0xb42fdfa7
	s_mov_b32 s44, 0xf9a43bb8
	;; [unrolled: 1-line block ×6, first 2 shown]
	v_mul_f64 v[19:20], v[5:6], 0.5
	v_cmp_class_f64_e64 s0, v[3:4], 0x1f8
	v_fma_f64 v[11:12], v[9:10], s[44:45], s[42:43]
	s_mov_b32 s42, 0x9037ab78
	s_mov_b32 s44, 0x46cc5e42
	;; [unrolled: 1-line block ×4, first 2 shown]
	v_mul_f64 v[15:16], v[9:10], 0.5
	v_fma_f64 v[13:14], v[9:10], s[44:45], s[42:43]
	s_mov_b32 s42, 0xa17f65f6
	s_mov_b32 s44, 0x19e83e5c
	;; [unrolled: 1-line block ×4, first 2 shown]
	v_mul_f64 v[21:22], v[0:1], -v[9:10]
	v_fma_f64 v[11:12], v[9:10], v[11:12], s[46:47]
	v_add_f64 v[17:18], -v[15:16], 1.0
	v_fma_f64 v[13:14], v[9:10], v[13:14], s[42:43]
	s_mov_b32 s42, 0x19f4ec90
	s_mov_b32 s43, 0x3efa01a0
	v_fma_f64 v[11:12], v[9:10], v[11:12], s[44:45]
	s_mov_b32 s44, 0x11110bb3
	s_mov_b32 s45, 0x3f811111
	v_add_f64 v[23:24], -v[17:18], 1.0
	v_fma_f64 v[13:14], v[9:10], v[13:14], s[42:43]
	s_mov_b32 s42, 0x16c16967
	s_mov_b32 s43, 0xbf56c16c
	v_fma_f64 v[11:12], v[9:10], v[11:12], s[44:45]
	v_add_f64 v[15:16], v[23:24], -v[15:16]
	v_fma_f64 v[13:14], v[9:10], v[13:14], s[42:43]
	s_mov_b32 s43, 0x3fa55555
	s_mov_b32 s42, 0x55555555
	v_fma_f64 v[11:12], v[21:22], v[11:12], v[19:20]
	v_mul_f64 v[19:20], v[9:10], v[9:10]
	v_fma_f64 v[15:16], v[0:1], -v[5:6], v[15:16]
	v_fma_f64 v[13:14], v[9:10], v[13:14], s[42:43]
	s_mov_b32 s43, 0xbfc55555
	v_fma_f64 v[5:6], v[9:10], v[11:12], -v[5:6]
	v_fma_f64 v[9:10], v[19:20], v[13:14], v[15:16]
	v_fma_f64 v[5:6], v[21:22], s[42:43], v[5:6]
	v_add_f64 v[9:10], v[17:18], v[9:10]
	v_add_f64 v[0:1], v[0:1], -v[5:6]
	v_and_b32_e32 v5, 1, v7
	v_cmp_eq_u32_e32 vcc_lo, 0, v5
	v_lshlrev_b32_e32 v5, 30, v7
	v_xor_b32_e32 v5, v5, v4
	v_and_b32_e32 v5, 0x80000000, v5
	v_cndmask_b32_e32 v1, v10, v1, vcc_lo
	v_cndmask_b32_e32 v0, v9, v0, vcc_lo
	v_xor_b32_e32 v1, v1, v5
	v_cndmask_b32_e64 v0, 0, v0, s0
	v_cndmask_b32_e64 v1, 0x7ff80000, v1, s0
	v_div_scale_f64 v[5:6], null, v[3:4], v[3:4], v[0:1]
	v_rcp_f64_e32 v[9:10], v[5:6]
	v_fma_f64 v[11:12], -v[5:6], v[9:10], 1.0
	v_fma_f64 v[9:10], v[9:10], v[11:12], v[9:10]
	v_fma_f64 v[11:12], -v[5:6], v[9:10], 1.0
	v_fma_f64 v[9:10], v[9:10], v[11:12], v[9:10]
	v_div_scale_f64 v[11:12], vcc_lo, v[0:1], v[3:4], v[0:1]
	v_mul_f64 v[13:14], v[11:12], v[9:10]
	v_fma_f64 v[5:6], -v[5:6], v[13:14], v[11:12]
	v_div_fmas_f64 v[5:6], v[5:6], v[9:10], v[13:14]
	v_div_fixup_f64 v[0:1], v[5:6], v[3:4], v[0:1]
                                        ; implicit-def: $vgpr3_vgpr4
.LBB7_311:
	s_andn2_saveexec_b32 s0, s23
	s_cbranch_execz .LBB7_313
; %bb.312:
	v_mul_f64 v[0:1], v[3:4], v[3:4]
	s_mov_b32 s42, 0x67f544e4
	s_mov_b32 s44, 0x13a86d09
	s_mov_b32 s43, 0xbe5ae645
	s_mov_b32 s45, 0x3de61246
	v_fma_f64 v[3:4], v[0:1], s[44:45], s[42:43]
	s_mov_b32 s42, 0xa556c734
	s_mov_b32 s43, 0x3ec71de3
	v_fma_f64 v[3:4], v[0:1], v[3:4], s[42:43]
	s_mov_b32 s42, 0x1a01a01a
	s_mov_b32 s43, 0xbf2a01a0
	v_fma_f64 v[3:4], v[0:1], v[3:4], s[42:43]
	s_mov_b32 s42, 0x11111111
	s_mov_b32 s43, 0x3f811111
	v_fma_f64 v[3:4], v[0:1], v[3:4], s[42:43]
	s_mov_b32 s42, 0x55555555
	s_mov_b32 s43, 0xbfc55555
	v_fma_f64 v[3:4], v[0:1], v[3:4], s[42:43]
	v_fma_f64 v[0:1], v[0:1], v[3:4], 1.0
.LBB7_313:
	s_or_b32 exec_lo, exec_lo, s0
.LBB7_314:
	s_or_b32 exec_lo, exec_lo, s22
	v_add_co_u32 v4, s0, s8, v2
	v_add_co_ci_u32_e64 v5, null, s9, 0, s0
	s_and_b32 s22, s29, 0xff
	s_cmp_lt_i32 s22, 11
	s_cbranch_scc1 .LBB7_322
; %bb.315:
	s_and_b32 s23, 0xffff, s22
	s_cmp_gt_i32 s23, 25
	s_cbranch_scc0 .LBB7_324
; %bb.316:
	s_cmp_gt_i32 s23, 28
	s_cbranch_scc0 .LBB7_326
; %bb.317:
	;; [unrolled: 3-line block ×4, first 2 shown]
	s_mov_b32 s40, 0
	s_mov_b32 s0, -1
	s_cmp_eq_u32 s23, 46
	s_mov_b32 s39, 0
	s_cbranch_scc0 .LBB7_339
; %bb.320:
	v_cvt_f32_f64_e32 v2, v[0:1]
	s_mov_b32 s39, -1
	s_mov_b32 s0, 0
	v_bfe_u32 v3, v2, 16, 1
	v_cmp_o_f32_e32 vcc_lo, v2, v2
	v_add3_u32 v2, v2, v3, 0x7fff
	v_mov_b32_e32 v3, 0x7fc0
	v_cndmask_b32_sdwa v2, v3, v2, vcc_lo dst_sel:DWORD dst_unused:UNUSED_PAD src0_sel:DWORD src1_sel:WORD_1
	global_store_dword v[4:5], v2, off
	s_branch .LBB7_339
.LBB7_321:
	s_mov_b32 s23, -1
	s_mov_b32 s22, 0
	s_mov_b32 s1, s37
                                        ; implicit-def: $vgpr3_vgpr4
	s_branch .LBB7_478
.LBB7_322:
	s_mov_b32 s23, -1
	s_mov_b32 s39, 0
	s_mov_b32 s0, s36
	s_branch .LBB7_408
.LBB7_323:
	s_mov_b32 s23, -1
	s_mov_b32 s22, 0
	s_mov_b32 s1, s37
                                        ; implicit-def: $vgpr3_vgpr4
	s_branch .LBB7_457
.LBB7_324:
	s_mov_b32 s40, -1
	s_mov_b32 s39, 0
	s_mov_b32 s0, s36
	s_branch .LBB7_366
.LBB7_325:
	s_mov_b32 s23, -1
	s_mov_b32 s22, 0
	s_mov_b32 s1, s37
                                        ; implicit-def: $vgpr3_vgpr4
	s_branch .LBB7_452
.LBB7_326:
	s_mov_b32 s40, -1
	s_mov_b32 s39, 0
	s_mov_b32 s0, s36
	s_branch .LBB7_349
.LBB7_327:
	s_andn2_saveexec_b32 s40, s40
	s_cbranch_execz .LBB7_78
.LBB7_328:
	v_add_f32_e64 v3, 0x46000000, |v2|
	s_andn2_b32 s37, s37, exec_lo
	v_and_b32_e32 v3, 0xff, v3
	v_cmp_ne_u32_e32 vcc_lo, 0, v3
	s_and_b32 s41, vcc_lo, exec_lo
	s_or_b32 s37, s37, s41
	s_or_b32 exec_lo, exec_lo, s40
	v_mov_b32_e32 v6, 0
	s_and_saveexec_b32 s40, s37
	s_cbranch_execnz .LBB7_79
	s_branch .LBB7_80
.LBB7_329:
	s_mov_b32 s23, -1
	s_mov_b32 s22, 0
	s_mov_b32 s1, s37
	s_branch .LBB7_334
.LBB7_330:
	s_mov_b32 s40, -1
	s_mov_b32 s39, 0
	s_mov_b32 s0, s36
	s_branch .LBB7_345
.LBB7_331:
	s_andn2_saveexec_b32 s40, s40
	s_cbranch_execz .LBB7_91
.LBB7_332:
	v_add_f32_e64 v3, 0x42800000, |v2|
	s_andn2_b32 s37, s37, exec_lo
	v_and_b32_e32 v3, 0xff, v3
	v_cmp_ne_u32_e32 vcc_lo, 0, v3
	s_and_b32 s41, vcc_lo, exec_lo
	s_or_b32 s37, s37, s41
	s_or_b32 exec_lo, exec_lo, s40
	v_mov_b32_e32 v6, 0
	s_and_saveexec_b32 s40, s37
	s_cbranch_execnz .LBB7_92
	s_branch .LBB7_93
.LBB7_333:
	s_mov_b32 s1, -1
	s_mov_b32 s22, 0
.LBB7_334:
                                        ; implicit-def: $vgpr3_vgpr4
.LBB7_335:
	s_and_b32 vcc_lo, exec_lo, s23
	s_cbranch_vccz .LBB7_451
; %bb.336:
	s_cmp_eq_u32 s0, 44
	s_cbranch_scc0 .LBB7_450
; %bb.337:
	global_load_ubyte v5, v[0:1], off
	s_mov_b32 s1, 0
	s_mov_b32 s22, -1
	s_waitcnt vmcnt(0)
	v_lshlrev_b32_e32 v3, 23, v5
	v_cmp_ne_u32_e32 vcc_lo, 0xff, v5
	v_cvt_f64_f32_e32 v[3:4], v3
	v_cndmask_b32_e32 v3, 0x20000000, v3, vcc_lo
	v_cndmask_b32_e32 v4, 0x7ff80000, v4, vcc_lo
	v_cmp_ne_u32_e32 vcc_lo, 0, v5
	v_cndmask_b32_e32 v4, 0x38000000, v4, vcc_lo
	v_cndmask_b32_e32 v3, 0, v3, vcc_lo
	s_branch .LBB7_451
.LBB7_338:
	s_mov_b32 s40, -1
	s_mov_b32 s39, 0
	s_mov_b32 s0, s36
.LBB7_339:
	s_and_b32 vcc_lo, exec_lo, s40
	s_cbranch_vccz .LBB7_344
; %bb.340:
	s_cmp_eq_u32 s23, 44
	s_mov_b32 s0, -1
	s_cbranch_scc0 .LBB7_344
; %bb.341:
	v_cvt_f32_f64_e32 v2, v[0:1]
	v_mov_b32_e32 v3, 0xff
	s_mov_b32 s39, exec_lo
	v_bfe_u32 v6, v2, 23, 8
	v_cmpx_ne_u32_e32 0xff, v6
	s_cbranch_execz .LBB7_343
; %bb.342:
	v_and_b32_e32 v3, 0x400000, v2
	v_and_or_b32 v6, 0x3fffff, v2, v6
	v_lshrrev_b32_e32 v2, 23, v2
	v_cmp_ne_u32_e32 vcc_lo, 0, v3
	v_cmp_ne_u32_e64 s0, 0, v6
	s_and_b32 s0, vcc_lo, s0
	v_cndmask_b32_e64 v3, 0, 1, s0
	v_add_nc_u32_e32 v3, v2, v3
.LBB7_343:
	s_or_b32 exec_lo, exec_lo, s39
	s_mov_b32 s39, -1
	s_mov_b32 s0, 0
	global_store_byte v[4:5], v3, off
.LBB7_344:
	s_mov_b32 s40, 0
.LBB7_345:
	s_and_b32 vcc_lo, exec_lo, s40
	s_cbranch_vccz .LBB7_348
; %bb.346:
	s_cmp_eq_u32 s23, 29
	s_mov_b32 s0, -1
	s_cbranch_scc0 .LBB7_348
; %bb.347:
	v_trunc_f64_e32 v[2:3], v[0:1]
	s_mov_b32 s39, -1
	s_mov_b32 s0, 0
	s_mov_b32 s40, 0
	v_ldexp_f64 v[6:7], v[2:3], 0xffffffe0
	v_floor_f64_e32 v[6:7], v[6:7]
	v_fma_f64 v[2:3], 0xc1f00000, v[6:7], v[2:3]
	v_cvt_u32_f64_e32 v7, v[6:7]
	v_cvt_u32_f64_e32 v6, v[2:3]
	global_store_dwordx2 v[4:5], v[6:7], off
	s_branch .LBB7_349
.LBB7_348:
	s_mov_b32 s40, 0
.LBB7_349:
	s_and_b32 vcc_lo, exec_lo, s40
	s_cbranch_vccz .LBB7_365
; %bb.350:
	s_cmp_lt_i32 s23, 27
	s_mov_b32 s39, -1
	s_cbranch_scc1 .LBB7_356
; %bb.351:
	v_cvt_u32_f64_e32 v2, v[0:1]
	s_cmp_gt_i32 s23, 27
	s_cbranch_scc0 .LBB7_353
; %bb.352:
	s_mov_b32 s39, 0
	global_store_dword v[4:5], v2, off
.LBB7_353:
	s_andn2_b32 vcc_lo, exec_lo, s39
	s_cbranch_vccnz .LBB7_355
; %bb.354:
	global_store_short v[4:5], v2, off
.LBB7_355:
	s_mov_b32 s39, 0
.LBB7_356:
	s_andn2_b32 vcc_lo, exec_lo, s39
	s_cbranch_vccnz .LBB7_364
; %bb.357:
	v_cvt_f32_f64_e32 v2, v[0:1]
	v_mov_b32_e32 v6, 0x80
	s_mov_b32 s39, exec_lo
	v_and_b32_e32 v3, 0x7fffffff, v2
	v_cmpx_gt_u32_e32 0x43800000, v3
	s_cbranch_execz .LBB7_363
; %bb.358:
	v_cmp_lt_u32_e32 vcc_lo, 0x3bffffff, v3
	s_mov_b32 s40, 0
                                        ; implicit-def: $vgpr3
	s_and_saveexec_b32 s42, vcc_lo
	s_xor_b32 s42, exec_lo, s42
	s_cbranch_execz .LBB7_591
; %bb.359:
	v_bfe_u32 v3, v2, 20, 1
	s_mov_b32 s40, exec_lo
	v_add3_u32 v3, v2, v3, 0x487ffff
	v_lshrrev_b32_e32 v3, 20, v3
	s_andn2_saveexec_b32 s42, s42
	s_cbranch_execnz .LBB7_592
.LBB7_360:
	s_or_b32 exec_lo, exec_lo, s42
	v_mov_b32_e32 v6, 0
	s_and_saveexec_b32 s42, s40
.LBB7_361:
	v_lshrrev_b32_e32 v2, 24, v2
	v_and_or_b32 v6, 0x80, v2, v3
.LBB7_362:
	s_or_b32 exec_lo, exec_lo, s42
.LBB7_363:
	s_or_b32 exec_lo, exec_lo, s39
	global_store_byte v[4:5], v6, off
.LBB7_364:
	s_mov_b32 s39, -1
.LBB7_365:
	s_mov_b32 s40, 0
.LBB7_366:
	s_and_b32 vcc_lo, exec_lo, s40
	s_cbranch_vccz .LBB7_407
; %bb.367:
	s_cmp_gt_i32 s23, 22
	s_mov_b32 s40, -1
	s_cbranch_scc0 .LBB7_399
; %bb.368:
	s_cmp_lt_i32 s23, 24
	s_mov_b32 s39, -1
	s_cbranch_scc1 .LBB7_388
; %bb.369:
	s_cmp_gt_i32 s23, 24
	s_cbranch_scc0 .LBB7_377
; %bb.370:
	v_cvt_f32_f64_e32 v2, v[0:1]
	v_mov_b32_e32 v6, 0x80
	s_mov_b32 s39, exec_lo
	v_and_b32_e32 v3, 0x7fffffff, v2
	v_cmpx_gt_u32_e32 0x47800000, v3
	s_cbranch_execz .LBB7_376
; %bb.371:
	v_cmp_lt_u32_e32 vcc_lo, 0x37ffffff, v3
	s_mov_b32 s40, 0
                                        ; implicit-def: $vgpr3
	s_and_saveexec_b32 s42, vcc_lo
	s_xor_b32 s42, exec_lo, s42
	s_cbranch_execz .LBB7_594
; %bb.372:
	v_bfe_u32 v3, v2, 21, 1
	s_mov_b32 s40, exec_lo
	v_add3_u32 v3, v2, v3, 0x88fffff
	v_lshrrev_b32_e32 v3, 21, v3
	s_andn2_saveexec_b32 s42, s42
	s_cbranch_execnz .LBB7_595
.LBB7_373:
	s_or_b32 exec_lo, exec_lo, s42
	v_mov_b32_e32 v6, 0
	s_and_saveexec_b32 s42, s40
.LBB7_374:
	v_lshrrev_b32_e32 v2, 24, v2
	v_and_or_b32 v6, 0x80, v2, v3
.LBB7_375:
	s_or_b32 exec_lo, exec_lo, s42
.LBB7_376:
	s_or_b32 exec_lo, exec_lo, s39
	s_mov_b32 s39, 0
	global_store_byte v[4:5], v6, off
.LBB7_377:
	s_and_b32 vcc_lo, exec_lo, s39
	s_cbranch_vccz .LBB7_387
; %bb.378:
	v_cvt_f32_f64_e32 v2, v[0:1]
	s_mov_b32 s39, exec_lo
                                        ; implicit-def: $vgpr3
	v_and_b32_e32 v6, 0x7fffffff, v2
	v_cmpx_gt_u32_e32 0x43f00000, v6
	s_xor_b32 s39, exec_lo, s39
	s_cbranch_execz .LBB7_384
; %bb.379:
	s_mov_b32 s40, exec_lo
                                        ; implicit-def: $vgpr3
	v_cmpx_lt_u32_e32 0x3c7fffff, v6
	s_xor_b32 s40, exec_lo, s40
; %bb.380:
	v_bfe_u32 v3, v2, 20, 1
	v_add3_u32 v3, v2, v3, 0x407ffff
	v_and_b32_e32 v6, 0xff00000, v3
	v_lshrrev_b32_e32 v3, 20, v3
	v_cmp_ne_u32_e32 vcc_lo, 0x7f00000, v6
	v_cndmask_b32_e32 v3, 0x7e, v3, vcc_lo
; %bb.381:
	s_andn2_saveexec_b32 s40, s40
; %bb.382:
	v_add_f32_e64 v3, 0x46800000, |v2|
; %bb.383:
	s_or_b32 exec_lo, exec_lo, s40
                                        ; implicit-def: $vgpr6
.LBB7_384:
	s_andn2_saveexec_b32 s39, s39
; %bb.385:
	v_mov_b32_e32 v3, 0x7f
	v_cmp_lt_u32_e32 vcc_lo, 0x7f800000, v6
	v_cndmask_b32_e32 v3, 0x7e, v3, vcc_lo
; %bb.386:
	s_or_b32 exec_lo, exec_lo, s39
	v_lshrrev_b32_e32 v2, 24, v2
	v_and_or_b32 v2, 0x80, v2, v3
	global_store_byte v[4:5], v2, off
.LBB7_387:
	s_mov_b32 s39, 0
.LBB7_388:
	s_andn2_b32 vcc_lo, exec_lo, s39
	s_cbranch_vccnz .LBB7_398
; %bb.389:
	v_cvt_f32_f64_e32 v2, v[0:1]
	s_mov_b32 s39, exec_lo
                                        ; implicit-def: $vgpr3
	v_and_b32_e32 v6, 0x7fffffff, v2
	v_cmpx_gt_u32_e32 0x47800000, v6
	s_xor_b32 s39, exec_lo, s39
	s_cbranch_execz .LBB7_395
; %bb.390:
	s_mov_b32 s40, exec_lo
                                        ; implicit-def: $vgpr3
	v_cmpx_lt_u32_e32 0x387fffff, v6
	s_xor_b32 s40, exec_lo, s40
; %bb.391:
	v_bfe_u32 v3, v2, 21, 1
	v_add3_u32 v3, v2, v3, 0x80fffff
	v_lshrrev_b32_e32 v3, 21, v3
; %bb.392:
	s_andn2_saveexec_b32 s40, s40
; %bb.393:
	v_add_f32_e64 v3, 0x43000000, |v2|
; %bb.394:
	s_or_b32 exec_lo, exec_lo, s40
                                        ; implicit-def: $vgpr6
.LBB7_395:
	s_andn2_saveexec_b32 s39, s39
; %bb.396:
	v_mov_b32_e32 v3, 0x7f
	v_cmp_lt_u32_e32 vcc_lo, 0x7f800000, v6
	v_cndmask_b32_e32 v3, 0x7c, v3, vcc_lo
; %bb.397:
	s_or_b32 exec_lo, exec_lo, s39
	v_lshrrev_b32_e32 v2, 24, v2
	v_and_or_b32 v2, 0x80, v2, v3
	global_store_byte v[4:5], v2, off
.LBB7_398:
	s_mov_b32 s40, 0
	s_mov_b32 s39, -1
.LBB7_399:
	s_andn2_b32 vcc_lo, exec_lo, s40
	s_cbranch_vccnz .LBB7_407
; %bb.400:
	s_cmp_gt_i32 s23, 14
	s_mov_b32 s40, -1
	s_cbranch_scc0 .LBB7_404
; %bb.401:
	s_cmp_eq_u32 s23, 15
	s_mov_b32 s0, -1
	s_cbranch_scc0 .LBB7_403
; %bb.402:
	v_cvt_f32_f64_e32 v2, v[0:1]
	s_mov_b32 s39, -1
	s_mov_b32 s0, 0
	v_bfe_u32 v3, v2, 16, 1
	v_cmp_o_f32_e32 vcc_lo, v2, v2
	v_add3_u32 v2, v2, v3, 0x7fff
	v_mov_b32_e32 v3, 0x7fc0
	v_cndmask_b32_sdwa v2, v3, v2, vcc_lo dst_sel:DWORD dst_unused:UNUSED_PAD src0_sel:DWORD src1_sel:WORD_1
	global_store_short v[4:5], v2, off
.LBB7_403:
	s_mov_b32 s40, 0
.LBB7_404:
	s_and_b32 vcc_lo, exec_lo, s40
	s_cbranch_vccz .LBB7_407
; %bb.405:
	s_cmp_eq_u32 s23, 11
	s_mov_b32 s0, -1
	s_cbranch_scc0 .LBB7_407
; %bb.406:
	v_cmp_neq_f64_e32 vcc_lo, 0, v[0:1]
	s_mov_b32 s39, -1
	s_mov_b32 s0, 0
	v_cndmask_b32_e64 v2, 0, 1, vcc_lo
	global_store_byte v[4:5], v2, off
.LBB7_407:
	s_mov_b32 s23, 0
.LBB7_408:
	s_and_b32 vcc_lo, exec_lo, s23
	s_cbranch_vccz .LBB7_447
; %bb.409:
	s_and_b32 s22, 0xffff, s22
	s_mov_b32 s23, -1
	s_cmp_lt_i32 s22, 5
	s_cbranch_scc1 .LBB7_430
; %bb.410:
	s_cmp_lt_i32 s22, 8
	s_cbranch_scc1 .LBB7_420
; %bb.411:
	;; [unrolled: 3-line block ×3, first 2 shown]
	s_cmp_gt_i32 s22, 9
	s_cbranch_scc0 .LBB7_414
; %bb.413:
	v_mov_b32_e32 v2, 0
	s_mov_b32 s23, 0
	v_mov_b32_e32 v3, v2
	global_store_dwordx4 v[4:5], v[0:3], off
.LBB7_414:
	s_andn2_b32 vcc_lo, exec_lo, s23
	s_cbranch_vccnz .LBB7_416
; %bb.415:
	v_cvt_f32_f64_e32 v2, v[0:1]
	v_mov_b32_e32 v3, 0
	global_store_dwordx2 v[4:5], v[2:3], off
.LBB7_416:
	s_mov_b32 s23, 0
.LBB7_417:
	s_andn2_b32 vcc_lo, exec_lo, s23
	s_cbranch_vccnz .LBB7_419
; %bb.418:
	v_and_or_b32 v2, 0x1ff, v1, v0
	v_lshrrev_b32_e32 v3, 8, v1
	v_bfe_u32 v6, v1, 20, 11
	v_cmp_ne_u32_e32 vcc_lo, 0, v2
	v_sub_nc_u32_e32 v7, 0x3f1, v6
	v_add_nc_u32_e32 v6, 0xfffffc10, v6
	v_cndmask_b32_e64 v2, 0, 1, vcc_lo
	v_and_or_b32 v2, 0xffe, v3, v2
	v_med3_i32 v3, v7, 0, 13
	v_or_b32_e32 v7, 0x1000, v2
	v_lshrrev_b32_e32 v9, v3, v7
	v_lshlrev_b32_e32 v3, v3, v9
	v_cmp_ne_u32_e32 vcc_lo, v3, v7
	v_lshl_or_b32 v7, v6, 12, v2
	v_cndmask_b32_e64 v3, 0, 1, vcc_lo
	v_cmp_gt_i32_e32 vcc_lo, 1, v6
	v_or_b32_e32 v3, v9, v3
	v_cndmask_b32_e32 v3, v7, v3, vcc_lo
	v_and_b32_e32 v7, 7, v3
	v_lshrrev_b32_e32 v3, 2, v3
	v_cmp_lt_i32_e32 vcc_lo, 5, v7
	v_cndmask_b32_e64 v9, 0, 1, vcc_lo
	v_cmp_eq_u32_e32 vcc_lo, 3, v7
	v_cndmask_b32_e64 v7, 0, 1, vcc_lo
	v_cmp_ne_u32_e32 vcc_lo, 0, v2
	v_or_b32_e32 v7, v7, v9
	v_mov_b32_e32 v9, 0x7e00
	v_add_nc_u32_e32 v3, v3, v7
	v_cndmask_b32_e32 v2, 0x7c00, v9, vcc_lo
	v_cmp_gt_i32_e32 vcc_lo, 31, v6
	v_cndmask_b32_e32 v3, 0x7c00, v3, vcc_lo
	v_cmp_eq_u32_e32 vcc_lo, 0x40f, v6
	v_cndmask_b32_e32 v2, v3, v2, vcc_lo
	v_lshrrev_b32_e32 v3, 16, v1
	v_and_or_b32 v2, 0x8000, v3, v2
	v_and_b32_e32 v2, 0xffff, v2
	global_store_dword v[4:5], v2, off
.LBB7_419:
	s_mov_b32 s23, 0
.LBB7_420:
	s_andn2_b32 vcc_lo, exec_lo, s23
	s_cbranch_vccnz .LBB7_429
; %bb.421:
	s_cmp_lt_i32 s22, 6
	s_mov_b32 s23, -1
	s_cbranch_scc1 .LBB7_427
; %bb.422:
	s_cmp_gt_i32 s22, 6
	s_cbranch_scc0 .LBB7_424
; %bb.423:
	s_mov_b32 s23, 0
	global_store_dwordx2 v[4:5], v[0:1], off
.LBB7_424:
	s_andn2_b32 vcc_lo, exec_lo, s23
	s_cbranch_vccnz .LBB7_426
; %bb.425:
	v_cvt_f32_f64_e32 v2, v[0:1]
	global_store_dword v[4:5], v2, off
.LBB7_426:
	s_mov_b32 s23, 0
.LBB7_427:
	s_andn2_b32 vcc_lo, exec_lo, s23
	s_cbranch_vccnz .LBB7_429
; %bb.428:
	v_and_or_b32 v2, 0x1ff, v1, v0
	v_lshrrev_b32_e32 v3, 8, v1
	v_bfe_u32 v6, v1, 20, 11
	v_cmp_ne_u32_e32 vcc_lo, 0, v2
	v_sub_nc_u32_e32 v7, 0x3f1, v6
	v_add_nc_u32_e32 v6, 0xfffffc10, v6
	v_cndmask_b32_e64 v2, 0, 1, vcc_lo
	v_and_or_b32 v2, 0xffe, v3, v2
	v_med3_i32 v3, v7, 0, 13
	v_or_b32_e32 v7, 0x1000, v2
	v_lshrrev_b32_e32 v9, v3, v7
	v_lshlrev_b32_e32 v3, v3, v9
	v_cmp_ne_u32_e32 vcc_lo, v3, v7
	v_lshl_or_b32 v7, v6, 12, v2
	v_cndmask_b32_e64 v3, 0, 1, vcc_lo
	v_cmp_gt_i32_e32 vcc_lo, 1, v6
	v_or_b32_e32 v3, v9, v3
	v_cndmask_b32_e32 v3, v7, v3, vcc_lo
	v_and_b32_e32 v7, 7, v3
	v_lshrrev_b32_e32 v3, 2, v3
	v_cmp_lt_i32_e32 vcc_lo, 5, v7
	v_cndmask_b32_e64 v9, 0, 1, vcc_lo
	v_cmp_eq_u32_e32 vcc_lo, 3, v7
	v_cndmask_b32_e64 v7, 0, 1, vcc_lo
	v_cmp_ne_u32_e32 vcc_lo, 0, v2
	v_or_b32_e32 v7, v7, v9
	v_mov_b32_e32 v9, 0x7e00
	v_add_nc_u32_e32 v3, v3, v7
	v_cndmask_b32_e32 v2, 0x7c00, v9, vcc_lo
	v_cmp_gt_i32_e32 vcc_lo, 31, v6
	v_cndmask_b32_e32 v3, 0x7c00, v3, vcc_lo
	v_cmp_eq_u32_e32 vcc_lo, 0x40f, v6
	v_cndmask_b32_e32 v2, v3, v2, vcc_lo
	v_lshrrev_b32_e32 v3, 16, v1
	v_and_or_b32 v2, 0x8000, v3, v2
	global_store_short v[4:5], v2, off
.LBB7_429:
	s_mov_b32 s23, 0
.LBB7_430:
	s_andn2_b32 vcc_lo, exec_lo, s23
	s_cbranch_vccnz .LBB7_446
; %bb.431:
	s_cmp_lt_i32 s22, 2
	s_mov_b32 s23, -1
	s_cbranch_scc1 .LBB7_441
; %bb.432:
	s_cmp_lt_i32 s22, 3
	s_cbranch_scc1 .LBB7_438
; %bb.433:
	s_cmp_gt_i32 s22, 3
	s_cbranch_scc0 .LBB7_435
; %bb.434:
	v_trunc_f64_e32 v[2:3], v[0:1]
	s_mov_b32 s23, 0
	v_ldexp_f64 v[6:7], v[2:3], 0xffffffe0
	v_floor_f64_e32 v[6:7], v[6:7]
	v_fma_f64 v[2:3], 0xc1f00000, v[6:7], v[2:3]
	v_cvt_i32_f64_e32 v7, v[6:7]
	v_cvt_u32_f64_e32 v6, v[2:3]
	global_store_dwordx2 v[4:5], v[6:7], off
.LBB7_435:
	s_andn2_b32 vcc_lo, exec_lo, s23
	s_cbranch_vccnz .LBB7_437
; %bb.436:
	v_cvt_i32_f64_e32 v2, v[0:1]
	global_store_dword v[4:5], v2, off
.LBB7_437:
	s_mov_b32 s23, 0
.LBB7_438:
	s_andn2_b32 vcc_lo, exec_lo, s23
	s_cbranch_vccnz .LBB7_440
; %bb.439:
	v_cvt_i32_f64_e32 v2, v[0:1]
	global_store_short v[4:5], v2, off
.LBB7_440:
	s_mov_b32 s23, 0
.LBB7_441:
	s_andn2_b32 vcc_lo, exec_lo, s23
	s_cbranch_vccnz .LBB7_446
; %bb.442:
	s_cmp_gt_i32 s22, 0
	s_mov_b32 s22, -1
	s_cbranch_scc0 .LBB7_444
; %bb.443:
	v_cvt_i32_f64_e32 v2, v[0:1]
	s_mov_b32 s22, 0
	global_store_byte v[4:5], v2, off
.LBB7_444:
	s_andn2_b32 vcc_lo, exec_lo, s22
	s_cbranch_vccnz .LBB7_446
; %bb.445:
	v_trunc_f64_e32 v[0:1], v[0:1]
	v_ldexp_f64 v[2:3], v[0:1], 0xffffffe0
	v_floor_f64_e32 v[2:3], v[2:3]
	v_fma_f64 v[0:1], 0xc1f00000, v[2:3], v[0:1]
	v_cvt_u32_f64_e32 v0, v[0:1]
	global_store_byte v[4:5], v0, off
.LBB7_446:
	s_mov_b32 s39, -1
.LBB7_447:
	s_andn2_b32 vcc_lo, exec_lo, s39
	s_cbranch_vccnz .LBB7_449
; %bb.448:
	v_add_nc_u32_e32 v8, 0x80, v8
	s_mov_b32 s22, -1
	s_branch .LBB7_562
.LBB7_449:
	s_mov_b32 s22, 0
	s_branch .LBB7_561
.LBB7_450:
	s_mov_b32 s1, -1
                                        ; implicit-def: $vgpr3_vgpr4
.LBB7_451:
	s_mov_b32 s23, 0
.LBB7_452:
	s_and_b32 vcc_lo, exec_lo, s23
	s_cbranch_vccz .LBB7_456
; %bb.453:
	s_cmp_eq_u32 s0, 29
	s_cbranch_scc0 .LBB7_455
; %bb.454:
	global_load_dwordx2 v[3:4], v[0:1], off
	s_mov_b32 s22, -1
	s_mov_b32 s1, 0
	s_mov_b32 s23, 0
	s_waitcnt vmcnt(0)
	v_cvt_f64_u32_e32 v[4:5], v4
	v_cvt_f64_u32_e32 v[6:7], v3
	v_ldexp_f64 v[4:5], v[4:5], 32
	v_add_f64 v[3:4], v[4:5], v[6:7]
	s_branch .LBB7_457
.LBB7_455:
	s_mov_b32 s1, -1
                                        ; implicit-def: $vgpr3_vgpr4
.LBB7_456:
	s_mov_b32 s23, 0
.LBB7_457:
	s_and_b32 vcc_lo, exec_lo, s23
	s_cbranch_vccz .LBB7_477
; %bb.458:
	s_cmp_lt_i32 s0, 27
	s_cbranch_scc1 .LBB7_461
; %bb.459:
	s_cmp_gt_i32 s0, 27
	s_cbranch_scc0 .LBB7_462
; %bb.460:
	global_load_dword v3, v[0:1], off
	s_mov_b32 s22, 0
	s_waitcnt vmcnt(0)
	v_cvt_f64_u32_e32 v[3:4], v3
	s_branch .LBB7_463
.LBB7_461:
	s_mov_b32 s22, -1
                                        ; implicit-def: $vgpr3_vgpr4
	s_branch .LBB7_466
.LBB7_462:
	s_mov_b32 s22, -1
                                        ; implicit-def: $vgpr3_vgpr4
.LBB7_463:
	s_andn2_b32 vcc_lo, exec_lo, s22
	s_cbranch_vccnz .LBB7_465
; %bb.464:
	global_load_ushort v3, v[0:1], off
	s_waitcnt vmcnt(0)
	v_cvt_f64_u32_e32 v[3:4], v3
.LBB7_465:
	s_mov_b32 s22, 0
.LBB7_466:
	s_andn2_b32 vcc_lo, exec_lo, s22
	s_cbranch_vccnz .LBB7_476
; %bb.467:
	global_load_ubyte v5, v[0:1], off
	s_mov_b32 s22, 0
	s_mov_b32 s23, exec_lo
	s_waitcnt vmcnt(0)
	v_cmpx_lt_i16_e32 0x7f, v5
	s_xor_b32 s23, exec_lo, s23
	s_cbranch_execz .LBB7_471
; %bb.468:
	s_mov_b32 s22, -1
	s_mov_b32 s39, exec_lo
	v_cmpx_eq_u16_e32 0x80, v5
; %bb.469:
	s_xor_b32 s22, exec_lo, -1
; %bb.470:
	s_or_b32 exec_lo, exec_lo, s39
	s_and_b32 s22, s22, exec_lo
.LBB7_471:
	s_or_saveexec_b32 s23, s23
	v_bfrev_b32_e32 v3, 4
	v_mov_b32_e32 v4, 0x7ff80000
	s_xor_b32 exec_lo, exec_lo, s23
; %bb.472:
	v_cmp_ne_u16_e32 vcc_lo, 0, v5
	v_mov_b32_e32 v3, 0
	v_mov_b32_e32 v4, 0
	s_andn2_b32 s22, s22, exec_lo
	s_and_b32 s39, vcc_lo, exec_lo
	s_or_b32 s22, s22, s39
; %bb.473:
	s_or_b32 exec_lo, exec_lo, s23
	s_and_saveexec_b32 s23, s22
	s_cbranch_execz .LBB7_475
; %bb.474:
	v_and_b32_e32 v3, 0xffff, v5
	v_lshlrev_b32_e32 v5, 24, v5
	v_and_b32_e32 v4, 7, v3
	v_bfe_u32 v9, v3, 3, 4
	v_ffbh_u32_e32 v6, v4
	v_cmp_eq_u32_e32 vcc_lo, 0, v9
	v_min_u32_e32 v6, 32, v6
	v_subrev_nc_u32_e32 v7, 28, v6
	v_sub_nc_u32_e32 v6, 29, v6
	v_lshlrev_b32_e32 v3, v7, v3
	v_cndmask_b32_e32 v6, v9, v6, vcc_lo
	v_and_b32_e32 v3, 7, v3
	v_cndmask_b32_e32 v3, v4, v3, vcc_lo
	v_and_b32_e32 v4, 0x80000000, v5
	v_lshl_add_u32 v5, v6, 23, 0x3b800000
	v_lshlrev_b32_e32 v3, 20, v3
	v_or3_b32 v3, v4, v5, v3
	v_cvt_f64_f32_e32 v[3:4], v3
.LBB7_475:
	s_or_b32 exec_lo, exec_lo, s23
.LBB7_476:
	s_mov_b32 s22, -1
.LBB7_477:
	s_mov_b32 s23, 0
.LBB7_478:
	s_and_b32 vcc_lo, exec_lo, s23
	s_cbranch_vccz .LBB7_511
; %bb.479:
	s_cmp_gt_i32 s0, 22
	s_cbranch_scc0 .LBB7_491
; %bb.480:
	s_cmp_lt_i32 s0, 24
	s_cbranch_scc1 .LBB7_492
; %bb.481:
	s_cmp_gt_i32 s0, 24
	s_cbranch_scc0 .LBB7_493
; %bb.482:
	global_load_ubyte v5, v[0:1], off
	s_mov_b32 s22, 0
	s_mov_b32 s23, exec_lo
	s_waitcnt vmcnt(0)
	v_cmpx_lt_i16_e32 0x7f, v5
	s_xor_b32 s23, exec_lo, s23
	s_cbranch_execz .LBB7_486
; %bb.483:
	s_mov_b32 s22, -1
	s_mov_b32 s39, exec_lo
	v_cmpx_eq_u16_e32 0x80, v5
; %bb.484:
	s_xor_b32 s22, exec_lo, -1
; %bb.485:
	s_or_b32 exec_lo, exec_lo, s39
	s_and_b32 s22, s22, exec_lo
.LBB7_486:
	s_or_saveexec_b32 s23, s23
	v_bfrev_b32_e32 v3, 4
	v_mov_b32_e32 v4, 0x7ff80000
	s_xor_b32 exec_lo, exec_lo, s23
; %bb.487:
	v_cmp_ne_u16_e32 vcc_lo, 0, v5
	v_mov_b32_e32 v3, 0
	v_mov_b32_e32 v4, 0
	s_andn2_b32 s22, s22, exec_lo
	s_and_b32 s39, vcc_lo, exec_lo
	s_or_b32 s22, s22, s39
; %bb.488:
	s_or_b32 exec_lo, exec_lo, s23
	s_and_saveexec_b32 s23, s22
	s_cbranch_execz .LBB7_490
; %bb.489:
	v_and_b32_e32 v3, 0xffff, v5
	v_lshlrev_b32_e32 v5, 24, v5
	v_and_b32_e32 v4, 3, v3
	v_bfe_u32 v9, v3, 2, 5
	v_ffbh_u32_e32 v6, v4
	v_cmp_eq_u32_e32 vcc_lo, 0, v9
	v_min_u32_e32 v6, 32, v6
	v_subrev_nc_u32_e32 v7, 29, v6
	v_sub_nc_u32_e32 v6, 30, v6
	v_lshlrev_b32_e32 v3, v7, v3
	v_cndmask_b32_e32 v6, v9, v6, vcc_lo
	v_and_b32_e32 v3, 3, v3
	v_cndmask_b32_e32 v3, v4, v3, vcc_lo
	v_and_b32_e32 v4, 0x80000000, v5
	v_lshl_add_u32 v5, v6, 23, 0x37800000
	v_lshlrev_b32_e32 v3, 21, v3
	v_or3_b32 v3, v4, v5, v3
	v_cvt_f64_f32_e32 v[3:4], v3
.LBB7_490:
	s_or_b32 exec_lo, exec_lo, s23
	s_mov_b32 s22, 0
	s_branch .LBB7_494
.LBB7_491:
	s_mov_b32 s23, -1
                                        ; implicit-def: $vgpr3_vgpr4
	s_branch .LBB7_500
.LBB7_492:
	s_mov_b32 s22, -1
                                        ; implicit-def: $vgpr3_vgpr4
	s_branch .LBB7_497
.LBB7_493:
	s_mov_b32 s22, -1
                                        ; implicit-def: $vgpr3_vgpr4
.LBB7_494:
	s_and_b32 vcc_lo, exec_lo, s22
	s_cbranch_vccz .LBB7_496
; %bb.495:
	global_load_ubyte v3, v[0:1], off
	s_waitcnt vmcnt(0)
	v_lshlrev_b32_e32 v3, 24, v3
	v_and_b32_e32 v4, 0x7f000000, v3
	v_ffbh_u32_e32 v5, v4
	v_add_nc_u32_e32 v7, 0x1000000, v4
	v_cmp_ne_u32_e32 vcc_lo, 0, v4
	v_min_u32_e32 v5, 32, v5
	v_sub_nc_u32_e64 v5, v5, 4 clamp
	v_lshlrev_b32_e32 v6, v5, v4
	v_lshlrev_b32_e32 v5, 23, v5
	v_lshrrev_b32_e32 v6, 4, v6
	v_sub_nc_u32_e32 v5, v6, v5
	v_ashrrev_i32_e32 v6, 8, v7
	v_add_nc_u32_e32 v5, 0x3c000000, v5
	v_and_or_b32 v5, 0x7f800000, v6, v5
	v_cndmask_b32_e32 v4, 0, v5, vcc_lo
	v_and_or_b32 v3, 0x80000000, v3, v4
	v_cvt_f64_f32_e32 v[3:4], v3
.LBB7_496:
	s_mov_b32 s22, 0
.LBB7_497:
	s_andn2_b32 vcc_lo, exec_lo, s22
	s_cbranch_vccnz .LBB7_499
; %bb.498:
	global_load_ubyte v3, v[0:1], off
	s_waitcnt vmcnt(0)
	v_lshlrev_b32_e32 v4, 25, v3
	v_lshlrev_b16 v3, 8, v3
	v_lshrrev_b32_e32 v5, 4, v4
	v_and_or_b32 v6, 0x7f00, v3, 0.5
	v_cmp_gt_u32_e32 vcc_lo, 0x8000000, v4
	v_bfe_i32 v3, v3, 0, 16
	v_or_b32_e32 v5, 0x70000000, v5
	v_add_f32_e32 v6, -0.5, v6
	v_mul_f32_e32 v5, 0x7800000, v5
	v_cndmask_b32_e32 v4, v5, v6, vcc_lo
	v_and_or_b32 v3, 0x80000000, v3, v4
	v_cvt_f64_f32_e32 v[3:4], v3
.LBB7_499:
	s_mov_b32 s23, 0
	s_mov_b32 s22, -1
.LBB7_500:
	s_andn2_b32 vcc_lo, exec_lo, s23
	s_cbranch_vccnz .LBB7_511
; %bb.501:
	s_cmp_gt_i32 s0, 14
	s_cbranch_scc0 .LBB7_504
; %bb.502:
	s_cmp_eq_u32 s0, 15
	s_cbranch_scc0 .LBB7_505
; %bb.503:
	global_load_ushort v3, v[0:1], off
	s_mov_b32 s22, -1
	s_mov_b32 s1, 0
	s_waitcnt vmcnt(0)
	v_lshlrev_b32_e32 v3, 16, v3
	v_cvt_f64_f32_e32 v[3:4], v3
	s_branch .LBB7_506
.LBB7_504:
	s_mov_b32 s23, -1
                                        ; implicit-def: $vgpr3_vgpr4
	s_branch .LBB7_507
.LBB7_505:
	s_mov_b32 s1, -1
                                        ; implicit-def: $vgpr3_vgpr4
.LBB7_506:
	s_mov_b32 s23, 0
.LBB7_507:
	s_and_b32 vcc_lo, exec_lo, s23
	s_cbranch_vccz .LBB7_511
; %bb.508:
	s_cmp_eq_u32 s0, 11
	s_cbranch_scc0 .LBB7_510
; %bb.509:
	global_load_ubyte v3, v[0:1], off
	s_mov_b32 s1, 0
	s_mov_b32 s22, -1
	s_waitcnt vmcnt(0)
	v_cmp_ne_u16_e32 vcc_lo, 0, v3
	v_mov_b32_e32 v3, 0
	v_cndmask_b32_e64 v4, 0, 0x3ff00000, vcc_lo
	s_branch .LBB7_511
.LBB7_510:
	s_mov_b32 s1, -1
                                        ; implicit-def: $vgpr3_vgpr4
.LBB7_511:
	s_branch .LBB7_303
.LBB7_512:
	s_cmp_lt_i32 s0, 5
	s_cbranch_scc1 .LBB7_517
; %bb.513:
	s_cmp_lt_i32 s0, 8
	s_cbranch_scc1 .LBB7_518
; %bb.514:
	;; [unrolled: 3-line block ×3, first 2 shown]
	s_cmp_gt_i32 s0, 9
	s_cbranch_scc0 .LBB7_520
; %bb.516:
	global_load_dwordx2 v[3:4], v[0:1], off
	s_mov_b32 s22, 0
	s_branch .LBB7_521
.LBB7_517:
	s_mov_b32 s22, -1
                                        ; implicit-def: $vgpr3_vgpr4
	s_branch .LBB7_539
.LBB7_518:
	s_mov_b32 s22, -1
                                        ; implicit-def: $vgpr3_vgpr4
	s_branch .LBB7_527
.LBB7_519:
	s_mov_b32 s22, -1
                                        ; implicit-def: $vgpr3_vgpr4
	s_branch .LBB7_524
.LBB7_520:
	s_mov_b32 s22, -1
                                        ; implicit-def: $vgpr3_vgpr4
.LBB7_521:
	s_andn2_b32 vcc_lo, exec_lo, s22
	s_cbranch_vccnz .LBB7_523
; %bb.522:
	global_load_dword v3, v[0:1], off
	s_waitcnt vmcnt(0)
	v_cvt_f64_f32_e32 v[3:4], v3
.LBB7_523:
	s_mov_b32 s22, 0
.LBB7_524:
	s_andn2_b32 vcc_lo, exec_lo, s22
	s_cbranch_vccnz .LBB7_526
; %bb.525:
	global_load_dword v3, v[0:1], off
	s_waitcnt vmcnt(0)
	v_cvt_f32_f16_e32 v3, v3
	v_cvt_f64_f32_e32 v[3:4], v3
.LBB7_526:
	s_mov_b32 s22, 0
.LBB7_527:
	s_andn2_b32 vcc_lo, exec_lo, s22
	s_cbranch_vccnz .LBB7_538
; %bb.528:
	s_cmp_lt_i32 s0, 6
	s_cbranch_scc1 .LBB7_531
; %bb.529:
	s_cmp_gt_i32 s0, 6
	s_cbranch_scc0 .LBB7_532
; %bb.530:
	global_load_dwordx2 v[3:4], v[0:1], off
	s_mov_b32 s22, 0
	s_branch .LBB7_533
.LBB7_531:
	s_mov_b32 s22, -1
                                        ; implicit-def: $vgpr3_vgpr4
	s_branch .LBB7_536
.LBB7_532:
	s_mov_b32 s22, -1
                                        ; implicit-def: $vgpr3_vgpr4
.LBB7_533:
	s_andn2_b32 vcc_lo, exec_lo, s22
	s_cbranch_vccnz .LBB7_535
; %bb.534:
	global_load_dword v3, v[0:1], off
	s_waitcnt vmcnt(0)
	v_cvt_f64_f32_e32 v[3:4], v3
.LBB7_535:
	s_mov_b32 s22, 0
.LBB7_536:
	s_andn2_b32 vcc_lo, exec_lo, s22
	s_cbranch_vccnz .LBB7_538
; %bb.537:
	global_load_ushort v3, v[0:1], off
	s_waitcnt vmcnt(0)
	v_cvt_f32_f16_e32 v3, v3
	v_cvt_f64_f32_e32 v[3:4], v3
.LBB7_538:
	s_mov_b32 s22, 0
.LBB7_539:
	s_andn2_b32 vcc_lo, exec_lo, s22
	s_cbranch_vccnz .LBB7_559
; %bb.540:
	s_cmp_lt_i32 s0, 2
	s_cbranch_scc1 .LBB7_544
; %bb.541:
	s_cmp_lt_i32 s0, 3
	s_cbranch_scc1 .LBB7_545
; %bb.542:
	s_cmp_gt_i32 s0, 3
	s_cbranch_scc0 .LBB7_546
; %bb.543:
	global_load_dwordx2 v[3:4], v[0:1], off
	s_mov_b32 s22, 0
	s_waitcnt vmcnt(0)
	v_cvt_f64_i32_e32 v[4:5], v4
	v_cvt_f64_u32_e32 v[6:7], v3
	v_ldexp_f64 v[4:5], v[4:5], 32
	v_add_f64 v[3:4], v[4:5], v[6:7]
	s_branch .LBB7_547
.LBB7_544:
	s_mov_b32 s22, -1
                                        ; implicit-def: $vgpr3_vgpr4
	s_branch .LBB7_553
.LBB7_545:
	s_mov_b32 s22, -1
                                        ; implicit-def: $vgpr3_vgpr4
	s_branch .LBB7_550
.LBB7_546:
	s_mov_b32 s22, -1
                                        ; implicit-def: $vgpr3_vgpr4
.LBB7_547:
	s_andn2_b32 vcc_lo, exec_lo, s22
	s_cbranch_vccnz .LBB7_549
; %bb.548:
	global_load_dword v3, v[0:1], off
	s_waitcnt vmcnt(0)
	v_cvt_f64_i32_e32 v[3:4], v3
.LBB7_549:
	s_mov_b32 s22, 0
.LBB7_550:
	s_andn2_b32 vcc_lo, exec_lo, s22
	s_cbranch_vccnz .LBB7_552
; %bb.551:
	global_load_sshort v3, v[0:1], off
	s_waitcnt vmcnt(0)
	v_cvt_f64_i32_e32 v[3:4], v3
.LBB7_552:
	s_mov_b32 s22, 0
.LBB7_553:
	s_andn2_b32 vcc_lo, exec_lo, s22
	s_cbranch_vccnz .LBB7_559
; %bb.554:
	s_cmp_gt_i32 s0, 0
	s_mov_b32 s0, 0
	s_cbranch_scc0 .LBB7_556
; %bb.555:
	global_load_sbyte v3, v[0:1], off
	s_waitcnt vmcnt(0)
	v_cvt_f64_i32_e32 v[3:4], v3
	s_branch .LBB7_557
.LBB7_556:
	s_mov_b32 s0, -1
                                        ; implicit-def: $vgpr3_vgpr4
.LBB7_557:
	s_andn2_b32 vcc_lo, exec_lo, s0
	s_cbranch_vccnz .LBB7_559
; %bb.558:
	global_load_ubyte v0, v[0:1], off
	s_waitcnt vmcnt(0)
	v_cvt_f64_u32_e32 v[3:4], v0
.LBB7_559:
	s_branch .LBB7_304
.LBB7_560:
	s_mov_b32 s22, 0
	s_mov_b32 s0, s36
.LBB7_561:
                                        ; implicit-def: $vgpr8
.LBB7_562:
	s_andn2_b32 s23, s36, exec_lo
	s_and_b32 s0, s0, exec_lo
	s_andn2_b32 s39, s37, exec_lo
	s_and_b32 s1, s1, exec_lo
	s_or_b32 s40, s23, s0
	s_or_b32 s39, s39, s1
	s_orn2_b32 s0, s22, exec_lo
.LBB7_563:
	s_or_b32 exec_lo, exec_lo, s41
	s_mov_b32 s1, 0
	s_mov_b32 s23, 0
	;; [unrolled: 1-line block ×3, first 2 shown]
                                        ; implicit-def: $vgpr0_vgpr1
                                        ; implicit-def: $vgpr2
                                        ; implicit-def: $vgpr3_vgpr4
	s_and_saveexec_b32 s41, s0
	s_cbranch_execz .LBB7_950
; %bb.564:
	s_mov_b32 s44, -1
	s_mov_b32 s22, s39
	s_mov_b32 s23, s40
	s_mov_b32 s42, exec_lo
	v_cmpx_gt_i32_e64 s33, v8
	s_cbranch_execz .LBB7_849
; %bb.565:
	s_andn2_b32 vcc_lo, exec_lo, s27
	s_cbranch_vccnz .LBB7_570
; %bb.566:
	s_andn2_b32 vcc_lo, exec_lo, s34
	s_cbranch_vccnz .LBB7_571
; %bb.567:
	s_add_i32 s44, s35, 1
	s_cmp_eq_u32 s25, 2
	s_cbranch_scc1 .LBB7_572
; %bb.568:
	v_mov_b32_e32 v0, 0
	v_mov_b32_e32 v2, 0
	;; [unrolled: 1-line block ×3, first 2 shown]
	s_and_b32 s43, s44, 28
	s_mov_b32 s45, 0
	s_mov_b64 s[0:1], s[2:3]
	s_mov_b64 s[22:23], s[20:21]
.LBB7_569:                              ; =>This Inner Loop Header: Depth=1
	s_clause 0x1
	s_load_dwordx8 s[48:55], s[0:1], 0x4
	s_load_dwordx4 s[64:67], s[0:1], 0x24
	s_load_dwordx8 s[56:63], s[22:23], 0x0
	s_add_u32 s0, s0, 48
	s_addc_u32 s1, s1, 0
	s_add_i32 s45, s45, 4
	s_add_u32 s22, s22, 32
	s_addc_u32 s23, s23, 0
	s_cmp_eq_u32 s43, s45
	s_waitcnt vmcnt(0) lgkmcnt(0)
	v_mul_hi_u32 v3, s49, v1
	v_add_nc_u32_e32 v3, v1, v3
	v_lshrrev_b32_e32 v3, s50, v3
	v_mul_hi_u32 v4, s52, v3
	v_mul_lo_u32 v6, v3, s48
	v_add_nc_u32_e32 v4, v3, v4
	v_sub_nc_u32_e32 v1, v1, v6
	v_lshrrev_b32_e32 v4, s53, v4
	v_mul_lo_u32 v6, v1, s56
	v_mul_lo_u32 v9, v1, s57
	v_mul_hi_u32 v5, s55, v4
	v_add_nc_u32_e32 v5, v4, v5
	v_lshrrev_b32_e32 v5, s64, v5
	v_mul_hi_u32 v7, s66, v5
	v_mul_lo_u32 v10, v5, s54
	v_add_nc_u32_e32 v1, v5, v7
	v_mul_lo_u32 v7, v4, s51
	v_sub_nc_u32_e32 v4, v4, v10
	v_lshrrev_b32_e32 v1, s67, v1
	v_mul_lo_u32 v10, v4, s60
	v_mul_lo_u32 v4, v4, s61
	v_sub_nc_u32_e32 v3, v3, v7
	v_mul_lo_u32 v11, v1, s65
	v_mul_lo_u32 v7, v3, s58
	;; [unrolled: 1-line block ×3, first 2 shown]
	v_sub_nc_u32_e32 v5, v5, v11
	v_add3_u32 v2, v6, v2, v7
	v_mul_lo_u32 v11, v5, s62
	v_mul_lo_u32 v5, v5, s63
	v_add3_u32 v0, v9, v0, v3
	v_add3_u32 v2, v10, v2, v11
	;; [unrolled: 1-line block ×3, first 2 shown]
	s_cbranch_scc0 .LBB7_569
	s_branch .LBB7_573
.LBB7_570:
	s_mov_b32 s0, -1
                                        ; implicit-def: $vgpr2
                                        ; implicit-def: $vgpr0
	s_branch .LBB7_577
.LBB7_571:
	v_mov_b32_e32 v2, 0
	v_mov_b32_e32 v0, 0
	s_branch .LBB7_576
.LBB7_572:
	v_mov_b32_e32 v2, 0
	v_mov_b32_e32 v0, 0
	;; [unrolled: 1-line block ×3, first 2 shown]
	s_mov_b32 s43, 0
.LBB7_573:
	s_and_b32 s44, s44, 3
	s_cmp_eq_u32 s44, 0
	s_cbranch_scc1 .LBB7_576
; %bb.574:
	s_lshl_b32 s0, s43, 3
	s_mul_i32 s22, s43, 12
	s_add_u32 s0, s2, s0
	s_addc_u32 s1, s3, 0
	s_add_u32 s0, s0, 0xc4
	s_addc_u32 s1, s1, 0
	;; [unrolled: 2-line block ×3, first 2 shown]
	.p2align	6
.LBB7_575:                              ; =>This Inner Loop Header: Depth=1
	s_clause 0x1
	s_load_dwordx2 s[46:47], s[22:23], 0x4
	s_load_dword s43, s[22:23], 0xc
	s_load_dwordx2 s[48:49], s[0:1], 0x0
	s_add_u32 s22, s22, 12
	s_addc_u32 s23, s23, 0
	s_add_u32 s0, s0, 8
	s_addc_u32 s1, s1, 0
	s_add_i32 s44, s44, -1
	s_cmp_lg_u32 s44, 0
	s_waitcnt vmcnt(0) lgkmcnt(0)
	v_mul_hi_u32 v3, s47, v1
	v_add_nc_u32_e32 v3, v1, v3
	v_lshrrev_b32_e32 v4, s43, v3
	v_mul_lo_u32 v3, v4, s46
	v_sub_nc_u32_e32 v1, v1, v3
	v_mad_u64_u32 v[2:3], null, v1, s48, v[2:3]
	v_mad_u64_u32 v[0:1], null, v1, s49, v[0:1]
	v_mov_b32_e32 v1, v4
	s_cbranch_scc1 .LBB7_575
.LBB7_576:
	s_mov_b32 s0, 0
.LBB7_577:
	s_andn2_b32 vcc_lo, exec_lo, s0
	s_cbranch_vccnz .LBB7_580
; %bb.578:
	s_waitcnt lgkmcnt(0)
	v_mul_hi_u32 v0, s17, v8
	s_andn2_b32 vcc_lo, exec_lo, s31
	v_add_nc_u32_e32 v0, v8, v0
	v_lshrrev_b32_e32 v1, s18, v0
	v_mul_lo_u32 v0, v1, s16
	v_sub_nc_u32_e32 v0, v8, v0
	v_mul_lo_u32 v2, v0, s12
	v_mul_lo_u32 v0, v0, s13
	s_cbranch_vccnz .LBB7_580
; %bb.579:
	s_waitcnt vmcnt(0)
	v_mul_hi_u32 v3, s6, v1
	v_add_nc_u32_e32 v3, v1, v3
	v_lshrrev_b32_e32 v3, s7, v3
	v_mul_lo_u32 v3, v3, s19
	v_sub_nc_u32_e32 v1, v1, v3
	v_mad_u64_u32 v[2:3], null, v1, s14, v[2:3]
	v_mad_u64_u32 v[0:1], null, v1, s15, v[0:1]
.LBB7_580:
	s_waitcnt lgkmcnt(0)
	v_add_co_u32 v0, s0, s10, v0
	v_add_co_ci_u32_e64 v1, null, s11, 0, s0
	s_and_b32 s0, 0xffff, s30
	s_cmp_lt_i32 s0, 11
	s_cbranch_scc1 .LBB7_587
; %bb.581:
	s_cmp_gt_i32 s0, 25
	s_cbranch_scc0 .LBB7_588
; %bb.582:
	s_cmp_gt_i32 s0, 28
	s_cbranch_scc0 .LBB7_589
	;; [unrolled: 3-line block ×4, first 2 shown]
; %bb.585:
	s_cmp_eq_u32 s0, 46
	s_mov_b32 s23, 0
	s_cbranch_scc0 .LBB7_596
; %bb.586:
	global_load_dword v3, v[0:1], off
	s_mov_b32 s22, -1
	s_mov_b32 s1, 0
	s_waitcnt vmcnt(0)
	v_lshlrev_b32_e32 v3, 16, v3
	v_cvt_f64_f32_e32 v[3:4], v3
	s_branch .LBB7_598
.LBB7_587:
	s_mov_b32 s23, -1
	s_mov_b32 s22, 0
	s_mov_b32 s1, s39
                                        ; implicit-def: $vgpr3_vgpr4
	s_branch .LBB7_663
.LBB7_588:
	s_mov_b32 s23, -1
	s_mov_b32 s22, 0
	s_mov_b32 s1, s39
                                        ; implicit-def: $vgpr3_vgpr4
	s_branch .LBB7_629
.LBB7_589:
	s_mov_b32 s23, -1
	s_mov_b32 s22, 0
	s_mov_b32 s1, s39
                                        ; implicit-def: $vgpr3_vgpr4
	s_branch .LBB7_608
.LBB7_590:
	s_mov_b32 s23, -1
	s_mov_b32 s22, 0
	s_mov_b32 s1, s39
                                        ; implicit-def: $vgpr3_vgpr4
	s_branch .LBB7_603
.LBB7_591:
	s_andn2_saveexec_b32 s42, s42
	s_cbranch_execz .LBB7_360
.LBB7_592:
	v_add_f32_e64 v3, 0x46000000, |v2|
	s_andn2_b32 s40, s40, exec_lo
	v_and_b32_e32 v3, 0xff, v3
	v_cmp_ne_u32_e32 vcc_lo, 0, v3
	s_and_b32 s43, vcc_lo, exec_lo
	s_or_b32 s40, s40, s43
	s_or_b32 exec_lo, exec_lo, s42
	v_mov_b32_e32 v6, 0
	s_and_saveexec_b32 s42, s40
	s_cbranch_execnz .LBB7_361
	s_branch .LBB7_362
.LBB7_593:
	s_mov_b32 s23, -1
	s_mov_b32 s22, 0
	s_mov_b32 s1, s39
	s_branch .LBB7_597
.LBB7_594:
	s_andn2_saveexec_b32 s42, s42
	s_cbranch_execz .LBB7_373
.LBB7_595:
	v_add_f32_e64 v3, 0x42800000, |v2|
	s_andn2_b32 s40, s40, exec_lo
	v_and_b32_e32 v3, 0xff, v3
	v_cmp_ne_u32_e32 vcc_lo, 0, v3
	s_and_b32 s43, vcc_lo, exec_lo
	s_or_b32 s40, s40, s43
	s_or_b32 exec_lo, exec_lo, s42
	v_mov_b32_e32 v6, 0
	s_and_saveexec_b32 s42, s40
	s_cbranch_execnz .LBB7_374
	s_branch .LBB7_375
.LBB7_596:
	s_mov_b32 s1, -1
	s_mov_b32 s22, 0
.LBB7_597:
                                        ; implicit-def: $vgpr3_vgpr4
.LBB7_598:
	s_and_b32 vcc_lo, exec_lo, s23
	s_cbranch_vccz .LBB7_602
; %bb.599:
	s_cmp_eq_u32 s0, 44
	s_cbranch_scc0 .LBB7_601
; %bb.600:
	global_load_ubyte v5, v[0:1], off
	s_mov_b32 s1, 0
	s_mov_b32 s22, -1
	s_waitcnt vmcnt(0)
	v_lshlrev_b32_e32 v3, 23, v5
	v_cmp_ne_u32_e32 vcc_lo, 0xff, v5
	v_cvt_f64_f32_e32 v[3:4], v3
	v_cndmask_b32_e32 v3, 0x20000000, v3, vcc_lo
	v_cndmask_b32_e32 v4, 0x7ff80000, v4, vcc_lo
	v_cmp_ne_u32_e32 vcc_lo, 0, v5
	v_cndmask_b32_e32 v4, 0x38000000, v4, vcc_lo
	v_cndmask_b32_e32 v3, 0, v3, vcc_lo
	s_branch .LBB7_602
.LBB7_601:
	s_mov_b32 s1, -1
                                        ; implicit-def: $vgpr3_vgpr4
.LBB7_602:
	s_mov_b32 s23, 0
.LBB7_603:
	s_and_b32 vcc_lo, exec_lo, s23
	s_cbranch_vccz .LBB7_607
; %bb.604:
	s_cmp_eq_u32 s0, 29
	s_cbranch_scc0 .LBB7_606
; %bb.605:
	global_load_dwordx2 v[3:4], v[0:1], off
	s_mov_b32 s22, -1
	s_mov_b32 s1, 0
	s_mov_b32 s23, 0
	s_waitcnt vmcnt(0)
	v_cvt_f64_u32_e32 v[4:5], v4
	v_cvt_f64_u32_e32 v[6:7], v3
	v_ldexp_f64 v[4:5], v[4:5], 32
	v_add_f64 v[3:4], v[4:5], v[6:7]
	s_branch .LBB7_608
.LBB7_606:
	s_mov_b32 s1, -1
                                        ; implicit-def: $vgpr3_vgpr4
.LBB7_607:
	s_mov_b32 s23, 0
.LBB7_608:
	s_and_b32 vcc_lo, exec_lo, s23
	s_cbranch_vccz .LBB7_628
; %bb.609:
	s_cmp_lt_i32 s0, 27
	s_cbranch_scc1 .LBB7_612
; %bb.610:
	s_cmp_gt_i32 s0, 27
	s_cbranch_scc0 .LBB7_613
; %bb.611:
	global_load_dword v3, v[0:1], off
	s_mov_b32 s22, 0
	s_waitcnt vmcnt(0)
	v_cvt_f64_u32_e32 v[3:4], v3
	s_branch .LBB7_614
.LBB7_612:
	s_mov_b32 s22, -1
                                        ; implicit-def: $vgpr3_vgpr4
	s_branch .LBB7_617
.LBB7_613:
	s_mov_b32 s22, -1
                                        ; implicit-def: $vgpr3_vgpr4
.LBB7_614:
	s_andn2_b32 vcc_lo, exec_lo, s22
	s_cbranch_vccnz .LBB7_616
; %bb.615:
	global_load_ushort v3, v[0:1], off
	s_waitcnt vmcnt(0)
	v_cvt_f64_u32_e32 v[3:4], v3
.LBB7_616:
	s_mov_b32 s22, 0
.LBB7_617:
	s_andn2_b32 vcc_lo, exec_lo, s22
	s_cbranch_vccnz .LBB7_627
; %bb.618:
	global_load_ubyte v5, v[0:1], off
	s_mov_b32 s22, 0
	s_mov_b32 s23, exec_lo
	s_waitcnt vmcnt(0)
	v_cmpx_lt_i16_e32 0x7f, v5
	s_xor_b32 s23, exec_lo, s23
	s_cbranch_execz .LBB7_622
; %bb.619:
	s_mov_b32 s22, -1
	s_mov_b32 s43, exec_lo
	v_cmpx_eq_u16_e32 0x80, v5
; %bb.620:
	s_xor_b32 s22, exec_lo, -1
; %bb.621:
	s_or_b32 exec_lo, exec_lo, s43
	s_and_b32 s22, s22, exec_lo
.LBB7_622:
	s_or_saveexec_b32 s23, s23
	v_bfrev_b32_e32 v3, 4
	v_mov_b32_e32 v4, 0x7ff80000
	s_xor_b32 exec_lo, exec_lo, s23
; %bb.623:
	v_cmp_ne_u16_e32 vcc_lo, 0, v5
	v_mov_b32_e32 v3, 0
	v_mov_b32_e32 v4, 0
	s_andn2_b32 s22, s22, exec_lo
	s_and_b32 s43, vcc_lo, exec_lo
	s_or_b32 s22, s22, s43
; %bb.624:
	s_or_b32 exec_lo, exec_lo, s23
	s_and_saveexec_b32 s23, s22
	s_cbranch_execz .LBB7_626
; %bb.625:
	v_and_b32_e32 v3, 0xffff, v5
	v_lshlrev_b32_e32 v5, 24, v5
	v_and_b32_e32 v4, 7, v3
	v_bfe_u32 v9, v3, 3, 4
	v_ffbh_u32_e32 v6, v4
	v_cmp_eq_u32_e32 vcc_lo, 0, v9
	v_min_u32_e32 v6, 32, v6
	v_subrev_nc_u32_e32 v7, 28, v6
	v_sub_nc_u32_e32 v6, 29, v6
	v_lshlrev_b32_e32 v3, v7, v3
	v_cndmask_b32_e32 v6, v9, v6, vcc_lo
	v_and_b32_e32 v3, 7, v3
	v_cndmask_b32_e32 v3, v4, v3, vcc_lo
	v_and_b32_e32 v4, 0x80000000, v5
	v_lshl_add_u32 v5, v6, 23, 0x3b800000
	v_lshlrev_b32_e32 v3, 20, v3
	v_or3_b32 v3, v4, v5, v3
	v_cvt_f64_f32_e32 v[3:4], v3
.LBB7_626:
	s_or_b32 exec_lo, exec_lo, s23
.LBB7_627:
	s_mov_b32 s22, -1
.LBB7_628:
	s_mov_b32 s23, 0
.LBB7_629:
	s_and_b32 vcc_lo, exec_lo, s23
	s_cbranch_vccz .LBB7_662
; %bb.630:
	s_cmp_gt_i32 s0, 22
	s_cbranch_scc0 .LBB7_642
; %bb.631:
	s_cmp_lt_i32 s0, 24
	s_cbranch_scc1 .LBB7_643
; %bb.632:
	s_cmp_gt_i32 s0, 24
	s_cbranch_scc0 .LBB7_644
; %bb.633:
	global_load_ubyte v5, v[0:1], off
	s_mov_b32 s22, 0
	s_mov_b32 s23, exec_lo
	s_waitcnt vmcnt(0)
	v_cmpx_lt_i16_e32 0x7f, v5
	s_xor_b32 s23, exec_lo, s23
	s_cbranch_execz .LBB7_637
; %bb.634:
	s_mov_b32 s22, -1
	s_mov_b32 s43, exec_lo
	v_cmpx_eq_u16_e32 0x80, v5
; %bb.635:
	s_xor_b32 s22, exec_lo, -1
; %bb.636:
	s_or_b32 exec_lo, exec_lo, s43
	s_and_b32 s22, s22, exec_lo
.LBB7_637:
	s_or_saveexec_b32 s23, s23
	v_bfrev_b32_e32 v3, 4
	v_mov_b32_e32 v4, 0x7ff80000
	s_xor_b32 exec_lo, exec_lo, s23
; %bb.638:
	v_cmp_ne_u16_e32 vcc_lo, 0, v5
	v_mov_b32_e32 v3, 0
	v_mov_b32_e32 v4, 0
	s_andn2_b32 s22, s22, exec_lo
	s_and_b32 s43, vcc_lo, exec_lo
	s_or_b32 s22, s22, s43
; %bb.639:
	s_or_b32 exec_lo, exec_lo, s23
	s_and_saveexec_b32 s23, s22
	s_cbranch_execz .LBB7_641
; %bb.640:
	v_and_b32_e32 v3, 0xffff, v5
	v_lshlrev_b32_e32 v5, 24, v5
	v_and_b32_e32 v4, 3, v3
	v_bfe_u32 v9, v3, 2, 5
	v_ffbh_u32_e32 v6, v4
	v_cmp_eq_u32_e32 vcc_lo, 0, v9
	v_min_u32_e32 v6, 32, v6
	v_subrev_nc_u32_e32 v7, 29, v6
	v_sub_nc_u32_e32 v6, 30, v6
	v_lshlrev_b32_e32 v3, v7, v3
	v_cndmask_b32_e32 v6, v9, v6, vcc_lo
	v_and_b32_e32 v3, 3, v3
	v_cndmask_b32_e32 v3, v4, v3, vcc_lo
	v_and_b32_e32 v4, 0x80000000, v5
	v_lshl_add_u32 v5, v6, 23, 0x37800000
	v_lshlrev_b32_e32 v3, 21, v3
	v_or3_b32 v3, v4, v5, v3
	v_cvt_f64_f32_e32 v[3:4], v3
.LBB7_641:
	s_or_b32 exec_lo, exec_lo, s23
	s_mov_b32 s22, 0
	s_branch .LBB7_645
.LBB7_642:
	s_mov_b32 s23, -1
                                        ; implicit-def: $vgpr3_vgpr4
	s_branch .LBB7_651
.LBB7_643:
	s_mov_b32 s22, -1
                                        ; implicit-def: $vgpr3_vgpr4
	s_branch .LBB7_648
.LBB7_644:
	s_mov_b32 s22, -1
                                        ; implicit-def: $vgpr3_vgpr4
.LBB7_645:
	s_and_b32 vcc_lo, exec_lo, s22
	s_cbranch_vccz .LBB7_647
; %bb.646:
	global_load_ubyte v3, v[0:1], off
	s_waitcnt vmcnt(0)
	v_lshlrev_b32_e32 v3, 24, v3
	v_and_b32_e32 v4, 0x7f000000, v3
	v_ffbh_u32_e32 v5, v4
	v_add_nc_u32_e32 v7, 0x1000000, v4
	v_cmp_ne_u32_e32 vcc_lo, 0, v4
	v_min_u32_e32 v5, 32, v5
	v_sub_nc_u32_e64 v5, v5, 4 clamp
	v_lshlrev_b32_e32 v6, v5, v4
	v_lshlrev_b32_e32 v5, 23, v5
	v_lshrrev_b32_e32 v6, 4, v6
	v_sub_nc_u32_e32 v5, v6, v5
	v_ashrrev_i32_e32 v6, 8, v7
	v_add_nc_u32_e32 v5, 0x3c000000, v5
	v_and_or_b32 v5, 0x7f800000, v6, v5
	v_cndmask_b32_e32 v4, 0, v5, vcc_lo
	v_and_or_b32 v3, 0x80000000, v3, v4
	v_cvt_f64_f32_e32 v[3:4], v3
.LBB7_647:
	s_mov_b32 s22, 0
.LBB7_648:
	s_andn2_b32 vcc_lo, exec_lo, s22
	s_cbranch_vccnz .LBB7_650
; %bb.649:
	global_load_ubyte v3, v[0:1], off
	s_waitcnt vmcnt(0)
	v_lshlrev_b32_e32 v4, 25, v3
	v_lshlrev_b16 v3, 8, v3
	v_lshrrev_b32_e32 v5, 4, v4
	v_and_or_b32 v6, 0x7f00, v3, 0.5
	v_cmp_gt_u32_e32 vcc_lo, 0x8000000, v4
	v_bfe_i32 v3, v3, 0, 16
	v_or_b32_e32 v5, 0x70000000, v5
	v_add_f32_e32 v6, -0.5, v6
	v_mul_f32_e32 v5, 0x7800000, v5
	v_cndmask_b32_e32 v4, v5, v6, vcc_lo
	v_and_or_b32 v3, 0x80000000, v3, v4
	v_cvt_f64_f32_e32 v[3:4], v3
.LBB7_650:
	s_mov_b32 s23, 0
	s_mov_b32 s22, -1
.LBB7_651:
	s_andn2_b32 vcc_lo, exec_lo, s23
	s_cbranch_vccnz .LBB7_662
; %bb.652:
	s_cmp_gt_i32 s0, 14
	s_cbranch_scc0 .LBB7_655
; %bb.653:
	s_cmp_eq_u32 s0, 15
	s_cbranch_scc0 .LBB7_656
; %bb.654:
	global_load_ushort v3, v[0:1], off
	s_mov_b32 s22, -1
	s_mov_b32 s1, 0
	s_waitcnt vmcnt(0)
	v_lshlrev_b32_e32 v3, 16, v3
	v_cvt_f64_f32_e32 v[3:4], v3
	s_branch .LBB7_657
.LBB7_655:
	s_mov_b32 s23, -1
                                        ; implicit-def: $vgpr3_vgpr4
	s_branch .LBB7_658
.LBB7_656:
	s_mov_b32 s1, -1
                                        ; implicit-def: $vgpr3_vgpr4
.LBB7_657:
	s_mov_b32 s23, 0
.LBB7_658:
	s_and_b32 vcc_lo, exec_lo, s23
	s_cbranch_vccz .LBB7_662
; %bb.659:
	s_cmp_eq_u32 s0, 11
	s_cbranch_scc0 .LBB7_661
; %bb.660:
	global_load_ubyte v3, v[0:1], off
	s_mov_b32 s1, 0
	s_mov_b32 s22, -1
	s_waitcnt vmcnt(0)
	v_cmp_ne_u16_e32 vcc_lo, 0, v3
	v_mov_b32_e32 v3, 0
	v_cndmask_b32_e64 v4, 0, 0x3ff00000, vcc_lo
	s_branch .LBB7_662
.LBB7_661:
	s_mov_b32 s1, -1
                                        ; implicit-def: $vgpr3_vgpr4
.LBB7_662:
	s_mov_b32 s23, 0
.LBB7_663:
	s_and_b32 vcc_lo, exec_lo, s23
	s_cbranch_vccz .LBB7_712
; %bb.664:
	s_cmp_lt_i32 s0, 5
	s_cbranch_scc1 .LBB7_669
; %bb.665:
	s_cmp_lt_i32 s0, 8
	s_cbranch_scc1 .LBB7_670
	;; [unrolled: 3-line block ×3, first 2 shown]
; %bb.667:
	s_cmp_gt_i32 s0, 9
	s_cbranch_scc0 .LBB7_672
; %bb.668:
	global_load_dwordx2 v[3:4], v[0:1], off
	s_mov_b32 s22, 0
	s_branch .LBB7_673
.LBB7_669:
	s_mov_b32 s22, -1
                                        ; implicit-def: $vgpr3_vgpr4
	s_branch .LBB7_691
.LBB7_670:
	s_mov_b32 s22, -1
                                        ; implicit-def: $vgpr3_vgpr4
	s_branch .LBB7_679
.LBB7_671:
	s_mov_b32 s22, -1
                                        ; implicit-def: $vgpr3_vgpr4
	s_branch .LBB7_676
.LBB7_672:
	s_mov_b32 s22, -1
                                        ; implicit-def: $vgpr3_vgpr4
.LBB7_673:
	s_andn2_b32 vcc_lo, exec_lo, s22
	s_cbranch_vccnz .LBB7_675
; %bb.674:
	global_load_dword v3, v[0:1], off
	s_waitcnt vmcnt(0)
	v_cvt_f64_f32_e32 v[3:4], v3
.LBB7_675:
	s_mov_b32 s22, 0
.LBB7_676:
	s_andn2_b32 vcc_lo, exec_lo, s22
	s_cbranch_vccnz .LBB7_678
; %bb.677:
	global_load_dword v3, v[0:1], off
	s_waitcnt vmcnt(0)
	v_cvt_f32_f16_e32 v3, v3
	v_cvt_f64_f32_e32 v[3:4], v3
.LBB7_678:
	s_mov_b32 s22, 0
.LBB7_679:
	s_andn2_b32 vcc_lo, exec_lo, s22
	s_cbranch_vccnz .LBB7_690
; %bb.680:
	s_cmp_lt_i32 s0, 6
	s_cbranch_scc1 .LBB7_683
; %bb.681:
	s_cmp_gt_i32 s0, 6
	s_cbranch_scc0 .LBB7_684
; %bb.682:
	global_load_dwordx2 v[3:4], v[0:1], off
	s_mov_b32 s22, 0
	s_branch .LBB7_685
.LBB7_683:
	s_mov_b32 s22, -1
                                        ; implicit-def: $vgpr3_vgpr4
	s_branch .LBB7_688
.LBB7_684:
	s_mov_b32 s22, -1
                                        ; implicit-def: $vgpr3_vgpr4
.LBB7_685:
	s_andn2_b32 vcc_lo, exec_lo, s22
	s_cbranch_vccnz .LBB7_687
; %bb.686:
	global_load_dword v3, v[0:1], off
	s_waitcnt vmcnt(0)
	v_cvt_f64_f32_e32 v[3:4], v3
.LBB7_687:
	s_mov_b32 s22, 0
.LBB7_688:
	s_andn2_b32 vcc_lo, exec_lo, s22
	s_cbranch_vccnz .LBB7_690
; %bb.689:
	global_load_ushort v3, v[0:1], off
	s_waitcnt vmcnt(0)
	v_cvt_f32_f16_e32 v3, v3
	v_cvt_f64_f32_e32 v[3:4], v3
.LBB7_690:
	s_mov_b32 s22, 0
.LBB7_691:
	s_andn2_b32 vcc_lo, exec_lo, s22
	s_cbranch_vccnz .LBB7_711
; %bb.692:
	s_cmp_lt_i32 s0, 2
	s_cbranch_scc1 .LBB7_696
; %bb.693:
	s_cmp_lt_i32 s0, 3
	s_cbranch_scc1 .LBB7_697
; %bb.694:
	s_cmp_gt_i32 s0, 3
	s_cbranch_scc0 .LBB7_698
; %bb.695:
	global_load_dwordx2 v[3:4], v[0:1], off
	s_mov_b32 s22, 0
	s_waitcnt vmcnt(0)
	v_cvt_f64_i32_e32 v[4:5], v4
	v_cvt_f64_u32_e32 v[6:7], v3
	v_ldexp_f64 v[4:5], v[4:5], 32
	v_add_f64 v[3:4], v[4:5], v[6:7]
	s_branch .LBB7_699
.LBB7_696:
	s_mov_b32 s22, -1
                                        ; implicit-def: $vgpr3_vgpr4
	s_branch .LBB7_705
.LBB7_697:
	s_mov_b32 s22, -1
                                        ; implicit-def: $vgpr3_vgpr4
	s_branch .LBB7_702
.LBB7_698:
	s_mov_b32 s22, -1
                                        ; implicit-def: $vgpr3_vgpr4
.LBB7_699:
	s_andn2_b32 vcc_lo, exec_lo, s22
	s_cbranch_vccnz .LBB7_701
; %bb.700:
	global_load_dword v3, v[0:1], off
	s_waitcnt vmcnt(0)
	v_cvt_f64_i32_e32 v[3:4], v3
.LBB7_701:
	s_mov_b32 s22, 0
.LBB7_702:
	s_andn2_b32 vcc_lo, exec_lo, s22
	s_cbranch_vccnz .LBB7_704
; %bb.703:
	global_load_sshort v3, v[0:1], off
	s_waitcnt vmcnt(0)
	v_cvt_f64_i32_e32 v[3:4], v3
.LBB7_704:
	s_mov_b32 s22, 0
.LBB7_705:
	s_andn2_b32 vcc_lo, exec_lo, s22
	s_cbranch_vccnz .LBB7_711
; %bb.706:
	s_cmp_gt_i32 s0, 0
	s_mov_b32 s0, 0
	s_cbranch_scc0 .LBB7_708
; %bb.707:
	global_load_sbyte v3, v[0:1], off
	s_waitcnt vmcnt(0)
	v_cvt_f64_i32_e32 v[3:4], v3
	s_branch .LBB7_709
.LBB7_708:
	s_mov_b32 s0, -1
                                        ; implicit-def: $vgpr3_vgpr4
.LBB7_709:
	s_andn2_b32 vcc_lo, exec_lo, s0
	s_cbranch_vccnz .LBB7_711
; %bb.710:
	global_load_ubyte v0, v[0:1], off
	s_waitcnt vmcnt(0)
	v_cvt_f64_u32_e32 v[3:4], v0
.LBB7_711:
	s_mov_b32 s22, -1
.LBB7_712:
	s_andn2_b32 vcc_lo, exec_lo, s22
	s_cbranch_vccnz .LBB7_730
; %bb.713:
	v_mov_b32_e32 v0, 0
	v_mov_b32_e32 v1, 0
	s_mov_b32 s22, exec_lo
	s_waitcnt vmcnt(0)
	v_cmpx_neq_f64_e64 0x7ff00000, |v[3:4]|
	s_cbranch_execz .LBB7_723
; %bb.714:
	s_mov_b32 s23, exec_lo
                                        ; implicit-def: $vgpr0_vgpr1
	v_cmpx_nlt_f64_e64 |v[3:4]|, 0.5
	s_xor_b32 s23, exec_lo, s23
	s_cbranch_execz .LBB7_720
; %bb.715:
	v_cmp_ngt_f64_e64 s0, 0x41d00000, |v[3:4]|
                                        ; implicit-def: $vgpr7
                                        ; implicit-def: $vgpr0_vgpr1
                                        ; implicit-def: $vgpr5_vgpr6
	s_and_saveexec_b32 s43, s0
	s_xor_b32 s0, exec_lo, s43
	s_cbranch_execz .LBB7_717
; %bb.716:
	v_ldexp_f64 v[0:1], |v[3:4]|, 0xffffff80
	v_cmp_le_f64_e64 vcc_lo, 0x7b000000, |v[3:4]|
	v_trig_preop_f64 v[5:6], |v[3:4]|, 0
	v_and_b32_e32 v7, 0x7fffffff, v4
	v_trig_preop_f64 v[9:10], |v[3:4]|, 1
	v_trig_preop_f64 v[19:20], |v[3:4]|, 2
	v_mov_b32_e32 v27, 0
	s_mov_b32 s44, 0x54442d18
	s_mov_b32 s45, 0x3ff921fb
	s_mov_b32 s46, 0x33145c07
	s_mov_b32 s47, 0x3c91a626
	v_cndmask_b32_e32 v1, v7, v1, vcc_lo
	v_cndmask_b32_e32 v0, v3, v0, vcc_lo
	v_mul_f64 v[11:12], v[5:6], v[0:1]
	v_mul_f64 v[13:14], v[9:10], v[0:1]
	;; [unrolled: 1-line block ×3, first 2 shown]
	v_fma_f64 v[5:6], v[5:6], v[0:1], -v[11:12]
	v_fma_f64 v[9:10], v[9:10], v[0:1], -v[13:14]
	;; [unrolled: 1-line block ×3, first 2 shown]
	v_add_f64 v[15:16], v[13:14], v[5:6]
	v_add_f64 v[17:18], v[15:16], -v[13:14]
	v_add_f64 v[23:24], v[11:12], v[15:16]
	v_add_f64 v[21:22], v[15:16], -v[17:18]
	v_add_f64 v[5:6], v[5:6], -v[17:18]
	v_ldexp_f64 v[17:18], v[23:24], -2
	v_add_f64 v[11:12], v[23:24], -v[11:12]
	v_add_f64 v[13:14], v[13:14], -v[21:22]
	v_add_f64 v[21:22], v[25:26], v[9:10]
	v_cmp_neq_f64_e64 vcc_lo, 0x7ff00000, |v[17:18]|
	v_add_f64 v[11:12], v[15:16], -v[11:12]
	v_add_f64 v[5:6], v[5:6], v[13:14]
	v_fract_f64_e32 v[13:14], v[17:18]
	v_add_f64 v[15:16], v[21:22], v[5:6]
	v_ldexp_f64 v[13:14], v[13:14], 2
	v_add_f64 v[17:18], v[11:12], v[15:16]
	v_cndmask_b32_e32 v14, 0, v14, vcc_lo
	v_cndmask_b32_e32 v13, 0, v13, vcc_lo
	v_add_f64 v[23:24], v[17:18], v[13:14]
	v_add_f64 v[11:12], v[17:18], -v[11:12]
	v_cmp_gt_f64_e32 vcc_lo, 0, v[23:24]
	v_add_f64 v[23:24], v[21:22], -v[25:26]
	v_add_f64 v[11:12], v[15:16], -v[11:12]
	v_cndmask_b32_e64 v28, 0, 0x40100000, vcc_lo
	v_add_f64 v[32:33], v[21:22], -v[23:24]
	v_add_f64 v[9:10], v[9:10], -v[23:24]
	v_add_f64 v[13:14], v[13:14], v[27:28]
	v_add_f64 v[28:29], v[15:16], -v[21:22]
	v_add_f64 v[23:24], v[25:26], -v[32:33]
	v_add_f64 v[30:31], v[17:18], v[13:14]
	;; [unrolled: 3-line block ×3, first 2 shown]
	v_cvt_i32_f64_e32 v7, v[30:31]
	v_add_f64 v[21:22], v[21:22], -v[34:35]
	v_cvt_f64_i32_e32 v[28:29], v7
	v_add_f64 v[5:6], v[5:6], v[21:22]
	v_add_f64 v[13:14], v[13:14], -v[28:29]
	v_add_f64 v[5:6], v[9:10], v[5:6]
	v_add_f64 v[9:10], v[17:18], v[13:14]
	;; [unrolled: 1-line block ×3, first 2 shown]
	v_add_f64 v[5:6], v[9:10], -v[13:14]
	v_cmp_le_f64_e32 vcc_lo, 0.5, v[9:10]
	v_add_f64 v[0:1], v[11:12], v[0:1]
	v_add_f64 v[5:6], v[17:18], -v[5:6]
	v_cndmask_b32_e64 v28, 0, 0x3ff00000, vcc_lo
	v_add_co_ci_u32_e64 v7, null, 0, v7, vcc_lo
	v_add_f64 v[0:1], v[0:1], v[5:6]
	v_add_f64 v[5:6], v[9:10], -v[27:28]
	v_add_f64 v[9:10], v[5:6], v[0:1]
	v_mul_f64 v[11:12], v[9:10], s[44:45]
	v_add_f64 v[5:6], v[9:10], -v[5:6]
	v_fma_f64 v[13:14], v[9:10], s[44:45], -v[11:12]
	v_add_f64 v[0:1], v[0:1], -v[5:6]
	v_fma_f64 v[5:6], v[9:10], s[46:47], v[13:14]
	v_fma_f64 v[5:6], v[0:1], s[44:45], v[5:6]
	v_add_f64 v[0:1], v[11:12], v[5:6]
	v_add_f64 v[9:10], v[0:1], -v[11:12]
	v_add_f64 v[5:6], v[5:6], -v[9:10]
.LBB7_717:
	s_andn2_saveexec_b32 s0, s0
	s_cbranch_execz .LBB7_719
; %bb.718:
	s_mov_b32 s44, 0x6dc9c883
	s_mov_b32 s45, 0x3fe45f30
	;; [unrolled: 1-line block ×3, first 2 shown]
	v_mul_f64 v[0:1], |v[3:4]|, s[44:45]
	s_mov_b32 s44, 0x54442d18
	s_mov_b32 s45, 0xbff921fb
	;; [unrolled: 1-line block ×3, first 2 shown]
	v_rndne_f64_e32 v[9:10], v[0:1]
	v_fma_f64 v[0:1], v[9:10], s[44:45], |v[3:4]|
	v_mul_f64 v[5:6], v[9:10], s[46:47]
	s_mov_b32 s44, 0x252049c0
	s_mov_b32 s45, 0xb97b839a
	v_cvt_i32_f64_e32 v7, v[9:10]
	v_fma_f64 v[13:14], v[9:10], s[46:47], v[0:1]
	v_add_f64 v[11:12], v[0:1], v[5:6]
	s_mov_b32 s47, 0x3c91a626
	v_add_f64 v[0:1], v[0:1], -v[11:12]
	v_add_f64 v[11:12], v[11:12], -v[13:14]
	v_add_f64 v[0:1], v[0:1], v[5:6]
	v_fma_f64 v[5:6], v[9:10], s[46:47], v[5:6]
	v_add_f64 v[0:1], v[11:12], v[0:1]
	v_add_f64 v[0:1], v[0:1], -v[5:6]
	v_fma_f64 v[5:6], v[9:10], s[44:45], v[0:1]
	v_add_f64 v[0:1], v[13:14], v[5:6]
	v_add_f64 v[11:12], v[0:1], -v[13:14]
	v_add_f64 v[5:6], v[5:6], -v[11:12]
.LBB7_719:
	s_or_b32 exec_lo, exec_lo, s0
	v_mul_f64 v[9:10], v[0:1], v[0:1]
	s_mov_b32 s44, 0xb42fdfa7
	s_mov_b32 s46, 0xf9a43bb8
	;; [unrolled: 1-line block ×6, first 2 shown]
	v_mul_f64 v[19:20], v[5:6], 0.5
	v_cmp_class_f64_e64 s0, v[3:4], 0x1f8
	v_fma_f64 v[11:12], v[9:10], s[46:47], s[44:45]
	s_mov_b32 s44, 0x9037ab78
	s_mov_b32 s46, 0x46cc5e42
	;; [unrolled: 1-line block ×4, first 2 shown]
	v_mul_f64 v[15:16], v[9:10], 0.5
	v_fma_f64 v[13:14], v[9:10], s[46:47], s[44:45]
	s_mov_b32 s44, 0xa17f65f6
	s_mov_b32 s46, 0x19e83e5c
	;; [unrolled: 1-line block ×4, first 2 shown]
	v_mul_f64 v[21:22], v[0:1], -v[9:10]
	v_fma_f64 v[11:12], v[9:10], v[11:12], s[48:49]
	v_add_f64 v[17:18], -v[15:16], 1.0
	v_fma_f64 v[13:14], v[9:10], v[13:14], s[44:45]
	s_mov_b32 s44, 0x19f4ec90
	s_mov_b32 s45, 0x3efa01a0
	v_fma_f64 v[11:12], v[9:10], v[11:12], s[46:47]
	s_mov_b32 s46, 0x11110bb3
	s_mov_b32 s47, 0x3f811111
	v_add_f64 v[23:24], -v[17:18], 1.0
	v_fma_f64 v[13:14], v[9:10], v[13:14], s[44:45]
	s_mov_b32 s44, 0x16c16967
	s_mov_b32 s45, 0xbf56c16c
	v_fma_f64 v[11:12], v[9:10], v[11:12], s[46:47]
	v_add_f64 v[15:16], v[23:24], -v[15:16]
	v_fma_f64 v[13:14], v[9:10], v[13:14], s[44:45]
	s_mov_b32 s45, 0x3fa55555
	s_mov_b32 s44, 0x55555555
	v_fma_f64 v[11:12], v[21:22], v[11:12], v[19:20]
	v_mul_f64 v[19:20], v[9:10], v[9:10]
	v_fma_f64 v[15:16], v[0:1], -v[5:6], v[15:16]
	v_fma_f64 v[13:14], v[9:10], v[13:14], s[44:45]
	s_mov_b32 s45, 0xbfc55555
	v_fma_f64 v[5:6], v[9:10], v[11:12], -v[5:6]
	v_fma_f64 v[9:10], v[19:20], v[13:14], v[15:16]
	v_fma_f64 v[5:6], v[21:22], s[44:45], v[5:6]
	v_add_f64 v[9:10], v[17:18], v[9:10]
	v_add_f64 v[0:1], v[0:1], -v[5:6]
	v_and_b32_e32 v5, 1, v7
	v_cmp_eq_u32_e32 vcc_lo, 0, v5
	v_lshlrev_b32_e32 v5, 30, v7
	v_xor_b32_e32 v5, v5, v4
	v_and_b32_e32 v5, 0x80000000, v5
	v_cndmask_b32_e32 v1, v10, v1, vcc_lo
	v_cndmask_b32_e32 v0, v9, v0, vcc_lo
	v_xor_b32_e32 v1, v1, v5
	v_cndmask_b32_e64 v0, 0, v0, s0
	v_cndmask_b32_e64 v1, 0x7ff80000, v1, s0
	v_div_scale_f64 v[5:6], null, v[3:4], v[3:4], v[0:1]
	v_rcp_f64_e32 v[9:10], v[5:6]
	v_fma_f64 v[11:12], -v[5:6], v[9:10], 1.0
	v_fma_f64 v[9:10], v[9:10], v[11:12], v[9:10]
	v_fma_f64 v[11:12], -v[5:6], v[9:10], 1.0
	v_fma_f64 v[9:10], v[9:10], v[11:12], v[9:10]
	v_div_scale_f64 v[11:12], vcc_lo, v[0:1], v[3:4], v[0:1]
	v_mul_f64 v[13:14], v[11:12], v[9:10]
	v_fma_f64 v[5:6], -v[5:6], v[13:14], v[11:12]
	v_div_fmas_f64 v[5:6], v[5:6], v[9:10], v[13:14]
	v_div_fixup_f64 v[0:1], v[5:6], v[3:4], v[0:1]
                                        ; implicit-def: $vgpr3_vgpr4
.LBB7_720:
	s_andn2_saveexec_b32 s0, s23
	s_cbranch_execz .LBB7_722
; %bb.721:
	v_mul_f64 v[0:1], v[3:4], v[3:4]
	s_mov_b32 s44, 0x67f544e4
	s_mov_b32 s46, 0x13a86d09
	;; [unrolled: 1-line block ×4, first 2 shown]
	v_fma_f64 v[3:4], v[0:1], s[46:47], s[44:45]
	s_mov_b32 s44, 0xa556c734
	s_mov_b32 s45, 0x3ec71de3
	v_fma_f64 v[3:4], v[0:1], v[3:4], s[44:45]
	s_mov_b32 s44, 0x1a01a01a
	s_mov_b32 s45, 0xbf2a01a0
	;; [unrolled: 3-line block ×4, first 2 shown]
	v_fma_f64 v[3:4], v[0:1], v[3:4], s[44:45]
	v_fma_f64 v[0:1], v[0:1], v[3:4], 1.0
.LBB7_722:
	s_or_b32 exec_lo, exec_lo, s0
.LBB7_723:
	s_or_b32 exec_lo, exec_lo, s22
	v_add_co_u32 v4, s0, s8, v2
	v_add_co_ci_u32_e64 v5, null, s9, 0, s0
	s_and_b32 s22, s29, 0xff
	s_cmp_lt_i32 s22, 11
	s_cbranch_scc1 .LBB7_731
; %bb.724:
	s_and_b32 s23, 0xffff, s22
	s_cmp_gt_i32 s23, 25
	s_cbranch_scc0 .LBB7_732
; %bb.725:
	s_cmp_gt_i32 s23, 28
	s_cbranch_scc0 .LBB7_733
; %bb.726:
	s_cmp_gt_i32 s23, 43
	s_cbranch_scc0 .LBB7_734
; %bb.727:
	s_cmp_gt_i32 s23, 45
	s_cbranch_scc0 .LBB7_735
; %bb.728:
	s_mov_b32 s44, 0
	s_mov_b32 s0, -1
	s_cmp_eq_u32 s23, 46
	s_mov_b32 s43, 0
	s_cbranch_scc0 .LBB7_736
; %bb.729:
	v_cvt_f32_f64_e32 v2, v[0:1]
	s_mov_b32 s43, -1
	s_mov_b32 s0, 0
	v_bfe_u32 v3, v2, 16, 1
	v_cmp_o_f32_e32 vcc_lo, v2, v2
	v_add3_u32 v2, v2, v3, 0x7fff
	v_mov_b32_e32 v3, 0x7fc0
	v_cndmask_b32_sdwa v2, v3, v2, vcc_lo dst_sel:DWORD dst_unused:UNUSED_PAD src0_sel:DWORD src1_sel:WORD_1
	global_store_dword v[4:5], v2, off
	s_branch .LBB7_736
.LBB7_730:
	s_mov_b32 s43, 0
	s_mov_b32 s0, s40
	s_branch .LBB7_847
.LBB7_731:
	s_mov_b32 s23, -1
	s_mov_b32 s43, 0
	s_mov_b32 s0, s40
	s_branch .LBB7_805
.LBB7_732:
	s_mov_b32 s44, -1
	s_mov_b32 s43, 0
	s_mov_b32 s0, s40
	s_branch .LBB7_763
.LBB7_733:
	s_mov_b32 s44, -1
	s_mov_b32 s43, 0
	s_mov_b32 s0, s40
	s_branch .LBB7_746
.LBB7_734:
	s_mov_b32 s44, -1
	s_mov_b32 s43, 0
	s_mov_b32 s0, s40
	s_branch .LBB7_742
.LBB7_735:
	s_mov_b32 s44, -1
	s_mov_b32 s43, 0
	s_mov_b32 s0, s40
.LBB7_736:
	s_and_b32 vcc_lo, exec_lo, s44
	s_cbranch_vccz .LBB7_741
; %bb.737:
	s_cmp_eq_u32 s23, 44
	s_mov_b32 s0, -1
	s_cbranch_scc0 .LBB7_741
; %bb.738:
	v_cvt_f32_f64_e32 v2, v[0:1]
	v_mov_b32_e32 v3, 0xff
	s_mov_b32 s43, exec_lo
	v_bfe_u32 v6, v2, 23, 8
	v_cmpx_ne_u32_e32 0xff, v6
	s_cbranch_execz .LBB7_740
; %bb.739:
	v_and_b32_e32 v3, 0x400000, v2
	v_and_or_b32 v6, 0x3fffff, v2, v6
	v_lshrrev_b32_e32 v2, 23, v2
	v_cmp_ne_u32_e32 vcc_lo, 0, v3
	v_cmp_ne_u32_e64 s0, 0, v6
	s_and_b32 s0, vcc_lo, s0
	v_cndmask_b32_e64 v3, 0, 1, s0
	v_add_nc_u32_e32 v3, v2, v3
.LBB7_740:
	s_or_b32 exec_lo, exec_lo, s43
	s_mov_b32 s43, -1
	s_mov_b32 s0, 0
	global_store_byte v[4:5], v3, off
.LBB7_741:
	s_mov_b32 s44, 0
.LBB7_742:
	s_and_b32 vcc_lo, exec_lo, s44
	s_cbranch_vccz .LBB7_745
; %bb.743:
	s_cmp_eq_u32 s23, 29
	s_mov_b32 s0, -1
	s_cbranch_scc0 .LBB7_745
; %bb.744:
	v_trunc_f64_e32 v[2:3], v[0:1]
	s_mov_b32 s43, -1
	s_mov_b32 s0, 0
	s_mov_b32 s44, 0
	v_ldexp_f64 v[6:7], v[2:3], 0xffffffe0
	v_floor_f64_e32 v[6:7], v[6:7]
	v_fma_f64 v[2:3], 0xc1f00000, v[6:7], v[2:3]
	v_cvt_u32_f64_e32 v7, v[6:7]
	v_cvt_u32_f64_e32 v6, v[2:3]
	global_store_dwordx2 v[4:5], v[6:7], off
	s_branch .LBB7_746
.LBB7_745:
	s_mov_b32 s44, 0
.LBB7_746:
	s_and_b32 vcc_lo, exec_lo, s44
	s_cbranch_vccz .LBB7_762
; %bb.747:
	s_cmp_lt_i32 s23, 27
	s_mov_b32 s43, -1
	s_cbranch_scc1 .LBB7_753
; %bb.748:
	v_cvt_u32_f64_e32 v2, v[0:1]
	s_cmp_gt_i32 s23, 27
	s_cbranch_scc0 .LBB7_750
; %bb.749:
	s_mov_b32 s43, 0
	global_store_dword v[4:5], v2, off
.LBB7_750:
	s_andn2_b32 vcc_lo, exec_lo, s43
	s_cbranch_vccnz .LBB7_752
; %bb.751:
	global_store_short v[4:5], v2, off
.LBB7_752:
	s_mov_b32 s43, 0
.LBB7_753:
	s_andn2_b32 vcc_lo, exec_lo, s43
	s_cbranch_vccnz .LBB7_761
; %bb.754:
	v_cvt_f32_f64_e32 v2, v[0:1]
	v_mov_b32_e32 v6, 0x80
	s_mov_b32 s43, exec_lo
	v_and_b32_e32 v3, 0x7fffffff, v2
	v_cmpx_gt_u32_e32 0x43800000, v3
	s_cbranch_execz .LBB7_760
; %bb.755:
	v_cmp_lt_u32_e32 vcc_lo, 0x3bffffff, v3
	s_mov_b32 s44, 0
                                        ; implicit-def: $vgpr3
	s_and_saveexec_b32 s45, vcc_lo
	s_xor_b32 s45, exec_lo, s45
	s_cbranch_execz .LBB7_877
; %bb.756:
	v_bfe_u32 v3, v2, 20, 1
	s_mov_b32 s44, exec_lo
	v_add3_u32 v3, v2, v3, 0x487ffff
	v_lshrrev_b32_e32 v3, 20, v3
	s_andn2_saveexec_b32 s45, s45
	s_cbranch_execnz .LBB7_878
.LBB7_757:
	s_or_b32 exec_lo, exec_lo, s45
	v_mov_b32_e32 v6, 0
	s_and_saveexec_b32 s45, s44
.LBB7_758:
	v_lshrrev_b32_e32 v2, 24, v2
	v_and_or_b32 v6, 0x80, v2, v3
.LBB7_759:
	s_or_b32 exec_lo, exec_lo, s45
.LBB7_760:
	s_or_b32 exec_lo, exec_lo, s43
	global_store_byte v[4:5], v6, off
.LBB7_761:
	s_mov_b32 s43, -1
.LBB7_762:
	s_mov_b32 s44, 0
.LBB7_763:
	s_and_b32 vcc_lo, exec_lo, s44
	s_cbranch_vccz .LBB7_804
; %bb.764:
	s_cmp_gt_i32 s23, 22
	s_mov_b32 s44, -1
	s_cbranch_scc0 .LBB7_796
; %bb.765:
	s_cmp_lt_i32 s23, 24
	s_mov_b32 s43, -1
	s_cbranch_scc1 .LBB7_785
; %bb.766:
	s_cmp_gt_i32 s23, 24
	s_cbranch_scc0 .LBB7_774
; %bb.767:
	v_cvt_f32_f64_e32 v2, v[0:1]
	v_mov_b32_e32 v6, 0x80
	s_mov_b32 s43, exec_lo
	v_and_b32_e32 v3, 0x7fffffff, v2
	v_cmpx_gt_u32_e32 0x47800000, v3
	s_cbranch_execz .LBB7_773
; %bb.768:
	v_cmp_lt_u32_e32 vcc_lo, 0x37ffffff, v3
	s_mov_b32 s44, 0
                                        ; implicit-def: $vgpr3
	s_and_saveexec_b32 s45, vcc_lo
	s_xor_b32 s45, exec_lo, s45
	s_cbranch_execz .LBB7_880
; %bb.769:
	v_bfe_u32 v3, v2, 21, 1
	s_mov_b32 s44, exec_lo
	v_add3_u32 v3, v2, v3, 0x88fffff
	v_lshrrev_b32_e32 v3, 21, v3
	s_andn2_saveexec_b32 s45, s45
	s_cbranch_execnz .LBB7_881
.LBB7_770:
	s_or_b32 exec_lo, exec_lo, s45
	v_mov_b32_e32 v6, 0
	s_and_saveexec_b32 s45, s44
.LBB7_771:
	v_lshrrev_b32_e32 v2, 24, v2
	v_and_or_b32 v6, 0x80, v2, v3
.LBB7_772:
	s_or_b32 exec_lo, exec_lo, s45
.LBB7_773:
	s_or_b32 exec_lo, exec_lo, s43
	s_mov_b32 s43, 0
	global_store_byte v[4:5], v6, off
.LBB7_774:
	s_and_b32 vcc_lo, exec_lo, s43
	s_cbranch_vccz .LBB7_784
; %bb.775:
	v_cvt_f32_f64_e32 v2, v[0:1]
	s_mov_b32 s43, exec_lo
                                        ; implicit-def: $vgpr3
	v_and_b32_e32 v6, 0x7fffffff, v2
	v_cmpx_gt_u32_e32 0x43f00000, v6
	s_xor_b32 s43, exec_lo, s43
	s_cbranch_execz .LBB7_781
; %bb.776:
	s_mov_b32 s44, exec_lo
                                        ; implicit-def: $vgpr3
	v_cmpx_lt_u32_e32 0x3c7fffff, v6
	s_xor_b32 s44, exec_lo, s44
; %bb.777:
	v_bfe_u32 v3, v2, 20, 1
	v_add3_u32 v3, v2, v3, 0x407ffff
	v_and_b32_e32 v6, 0xff00000, v3
	v_lshrrev_b32_e32 v3, 20, v3
	v_cmp_ne_u32_e32 vcc_lo, 0x7f00000, v6
	v_cndmask_b32_e32 v3, 0x7e, v3, vcc_lo
; %bb.778:
	s_andn2_saveexec_b32 s44, s44
; %bb.779:
	v_add_f32_e64 v3, 0x46800000, |v2|
; %bb.780:
	s_or_b32 exec_lo, exec_lo, s44
                                        ; implicit-def: $vgpr6
.LBB7_781:
	s_andn2_saveexec_b32 s43, s43
; %bb.782:
	v_mov_b32_e32 v3, 0x7f
	v_cmp_lt_u32_e32 vcc_lo, 0x7f800000, v6
	v_cndmask_b32_e32 v3, 0x7e, v3, vcc_lo
; %bb.783:
	s_or_b32 exec_lo, exec_lo, s43
	v_lshrrev_b32_e32 v2, 24, v2
	v_and_or_b32 v2, 0x80, v2, v3
	global_store_byte v[4:5], v2, off
.LBB7_784:
	s_mov_b32 s43, 0
.LBB7_785:
	s_andn2_b32 vcc_lo, exec_lo, s43
	s_cbranch_vccnz .LBB7_795
; %bb.786:
	v_cvt_f32_f64_e32 v2, v[0:1]
	s_mov_b32 s43, exec_lo
                                        ; implicit-def: $vgpr3
	v_and_b32_e32 v6, 0x7fffffff, v2
	v_cmpx_gt_u32_e32 0x47800000, v6
	s_xor_b32 s43, exec_lo, s43
	s_cbranch_execz .LBB7_792
; %bb.787:
	s_mov_b32 s44, exec_lo
                                        ; implicit-def: $vgpr3
	v_cmpx_lt_u32_e32 0x387fffff, v6
	s_xor_b32 s44, exec_lo, s44
; %bb.788:
	v_bfe_u32 v3, v2, 21, 1
	v_add3_u32 v3, v2, v3, 0x80fffff
	v_lshrrev_b32_e32 v3, 21, v3
; %bb.789:
	s_andn2_saveexec_b32 s44, s44
; %bb.790:
	v_add_f32_e64 v3, 0x43000000, |v2|
; %bb.791:
	s_or_b32 exec_lo, exec_lo, s44
                                        ; implicit-def: $vgpr6
.LBB7_792:
	s_andn2_saveexec_b32 s43, s43
; %bb.793:
	v_mov_b32_e32 v3, 0x7f
	v_cmp_lt_u32_e32 vcc_lo, 0x7f800000, v6
	v_cndmask_b32_e32 v3, 0x7c, v3, vcc_lo
; %bb.794:
	s_or_b32 exec_lo, exec_lo, s43
	v_lshrrev_b32_e32 v2, 24, v2
	v_and_or_b32 v2, 0x80, v2, v3
	global_store_byte v[4:5], v2, off
.LBB7_795:
	s_mov_b32 s44, 0
	s_mov_b32 s43, -1
.LBB7_796:
	s_andn2_b32 vcc_lo, exec_lo, s44
	s_cbranch_vccnz .LBB7_804
; %bb.797:
	s_cmp_gt_i32 s23, 14
	s_mov_b32 s44, -1
	s_cbranch_scc0 .LBB7_801
; %bb.798:
	s_cmp_eq_u32 s23, 15
	s_mov_b32 s0, -1
	s_cbranch_scc0 .LBB7_800
; %bb.799:
	v_cvt_f32_f64_e32 v2, v[0:1]
	s_mov_b32 s43, -1
	s_mov_b32 s0, 0
	v_bfe_u32 v3, v2, 16, 1
	v_cmp_o_f32_e32 vcc_lo, v2, v2
	v_add3_u32 v2, v2, v3, 0x7fff
	v_mov_b32_e32 v3, 0x7fc0
	v_cndmask_b32_sdwa v2, v3, v2, vcc_lo dst_sel:DWORD dst_unused:UNUSED_PAD src0_sel:DWORD src1_sel:WORD_1
	global_store_short v[4:5], v2, off
.LBB7_800:
	s_mov_b32 s44, 0
.LBB7_801:
	s_and_b32 vcc_lo, exec_lo, s44
	s_cbranch_vccz .LBB7_804
; %bb.802:
	s_cmp_eq_u32 s23, 11
	s_mov_b32 s0, -1
	s_cbranch_scc0 .LBB7_804
; %bb.803:
	v_cmp_neq_f64_e32 vcc_lo, 0, v[0:1]
	s_mov_b32 s43, -1
	s_mov_b32 s0, 0
	v_cndmask_b32_e64 v2, 0, 1, vcc_lo
	global_store_byte v[4:5], v2, off
.LBB7_804:
	s_mov_b32 s23, 0
.LBB7_805:
	s_and_b32 vcc_lo, exec_lo, s23
	s_cbranch_vccz .LBB7_844
; %bb.806:
	s_and_b32 s22, 0xffff, s22
	s_mov_b32 s23, -1
	s_cmp_lt_i32 s22, 5
	s_cbranch_scc1 .LBB7_827
; %bb.807:
	s_cmp_lt_i32 s22, 8
	s_cbranch_scc1 .LBB7_817
; %bb.808:
	;; [unrolled: 3-line block ×3, first 2 shown]
	s_cmp_gt_i32 s22, 9
	s_cbranch_scc0 .LBB7_811
; %bb.810:
	v_mov_b32_e32 v2, 0
	s_mov_b32 s23, 0
	v_mov_b32_e32 v3, v2
	global_store_dwordx4 v[4:5], v[0:3], off
.LBB7_811:
	s_andn2_b32 vcc_lo, exec_lo, s23
	s_cbranch_vccnz .LBB7_813
; %bb.812:
	v_cvt_f32_f64_e32 v2, v[0:1]
	v_mov_b32_e32 v3, 0
	global_store_dwordx2 v[4:5], v[2:3], off
.LBB7_813:
	s_mov_b32 s23, 0
.LBB7_814:
	s_andn2_b32 vcc_lo, exec_lo, s23
	s_cbranch_vccnz .LBB7_816
; %bb.815:
	v_and_or_b32 v2, 0x1ff, v1, v0
	v_lshrrev_b32_e32 v3, 8, v1
	v_bfe_u32 v6, v1, 20, 11
	v_cmp_ne_u32_e32 vcc_lo, 0, v2
	v_sub_nc_u32_e32 v7, 0x3f1, v6
	v_add_nc_u32_e32 v6, 0xfffffc10, v6
	v_cndmask_b32_e64 v2, 0, 1, vcc_lo
	v_and_or_b32 v2, 0xffe, v3, v2
	v_med3_i32 v3, v7, 0, 13
	v_or_b32_e32 v7, 0x1000, v2
	v_lshrrev_b32_e32 v9, v3, v7
	v_lshlrev_b32_e32 v3, v3, v9
	v_cmp_ne_u32_e32 vcc_lo, v3, v7
	v_lshl_or_b32 v7, v6, 12, v2
	v_cndmask_b32_e64 v3, 0, 1, vcc_lo
	v_cmp_gt_i32_e32 vcc_lo, 1, v6
	v_or_b32_e32 v3, v9, v3
	v_cndmask_b32_e32 v3, v7, v3, vcc_lo
	v_and_b32_e32 v7, 7, v3
	v_lshrrev_b32_e32 v3, 2, v3
	v_cmp_lt_i32_e32 vcc_lo, 5, v7
	v_cndmask_b32_e64 v9, 0, 1, vcc_lo
	v_cmp_eq_u32_e32 vcc_lo, 3, v7
	v_cndmask_b32_e64 v7, 0, 1, vcc_lo
	v_cmp_ne_u32_e32 vcc_lo, 0, v2
	v_or_b32_e32 v7, v7, v9
	v_mov_b32_e32 v9, 0x7e00
	v_add_nc_u32_e32 v3, v3, v7
	v_cndmask_b32_e32 v2, 0x7c00, v9, vcc_lo
	v_cmp_gt_i32_e32 vcc_lo, 31, v6
	v_cndmask_b32_e32 v3, 0x7c00, v3, vcc_lo
	v_cmp_eq_u32_e32 vcc_lo, 0x40f, v6
	v_cndmask_b32_e32 v2, v3, v2, vcc_lo
	v_lshrrev_b32_e32 v3, 16, v1
	v_and_or_b32 v2, 0x8000, v3, v2
	v_and_b32_e32 v2, 0xffff, v2
	global_store_dword v[4:5], v2, off
.LBB7_816:
	s_mov_b32 s23, 0
.LBB7_817:
	s_andn2_b32 vcc_lo, exec_lo, s23
	s_cbranch_vccnz .LBB7_826
; %bb.818:
	s_cmp_lt_i32 s22, 6
	s_mov_b32 s23, -1
	s_cbranch_scc1 .LBB7_824
; %bb.819:
	s_cmp_gt_i32 s22, 6
	s_cbranch_scc0 .LBB7_821
; %bb.820:
	s_mov_b32 s23, 0
	global_store_dwordx2 v[4:5], v[0:1], off
.LBB7_821:
	s_andn2_b32 vcc_lo, exec_lo, s23
	s_cbranch_vccnz .LBB7_823
; %bb.822:
	v_cvt_f32_f64_e32 v2, v[0:1]
	global_store_dword v[4:5], v2, off
.LBB7_823:
	s_mov_b32 s23, 0
.LBB7_824:
	s_andn2_b32 vcc_lo, exec_lo, s23
	s_cbranch_vccnz .LBB7_826
; %bb.825:
	v_and_or_b32 v2, 0x1ff, v1, v0
	v_lshrrev_b32_e32 v3, 8, v1
	v_bfe_u32 v6, v1, 20, 11
	v_cmp_ne_u32_e32 vcc_lo, 0, v2
	v_sub_nc_u32_e32 v7, 0x3f1, v6
	v_add_nc_u32_e32 v6, 0xfffffc10, v6
	v_cndmask_b32_e64 v2, 0, 1, vcc_lo
	v_and_or_b32 v2, 0xffe, v3, v2
	v_med3_i32 v3, v7, 0, 13
	v_or_b32_e32 v7, 0x1000, v2
	v_lshrrev_b32_e32 v9, v3, v7
	v_lshlrev_b32_e32 v3, v3, v9
	v_cmp_ne_u32_e32 vcc_lo, v3, v7
	v_lshl_or_b32 v7, v6, 12, v2
	v_cndmask_b32_e64 v3, 0, 1, vcc_lo
	v_cmp_gt_i32_e32 vcc_lo, 1, v6
	v_or_b32_e32 v3, v9, v3
	v_cndmask_b32_e32 v3, v7, v3, vcc_lo
	v_and_b32_e32 v7, 7, v3
	v_lshrrev_b32_e32 v3, 2, v3
	v_cmp_lt_i32_e32 vcc_lo, 5, v7
	v_cndmask_b32_e64 v9, 0, 1, vcc_lo
	v_cmp_eq_u32_e32 vcc_lo, 3, v7
	v_cndmask_b32_e64 v7, 0, 1, vcc_lo
	v_cmp_ne_u32_e32 vcc_lo, 0, v2
	v_or_b32_e32 v7, v7, v9
	v_mov_b32_e32 v9, 0x7e00
	v_add_nc_u32_e32 v3, v3, v7
	v_cndmask_b32_e32 v2, 0x7c00, v9, vcc_lo
	v_cmp_gt_i32_e32 vcc_lo, 31, v6
	v_cndmask_b32_e32 v3, 0x7c00, v3, vcc_lo
	v_cmp_eq_u32_e32 vcc_lo, 0x40f, v6
	v_cndmask_b32_e32 v2, v3, v2, vcc_lo
	v_lshrrev_b32_e32 v3, 16, v1
	v_and_or_b32 v2, 0x8000, v3, v2
	global_store_short v[4:5], v2, off
.LBB7_826:
	s_mov_b32 s23, 0
.LBB7_827:
	s_andn2_b32 vcc_lo, exec_lo, s23
	s_cbranch_vccnz .LBB7_843
; %bb.828:
	s_cmp_lt_i32 s22, 2
	s_mov_b32 s23, -1
	s_cbranch_scc1 .LBB7_838
; %bb.829:
	s_cmp_lt_i32 s22, 3
	s_cbranch_scc1 .LBB7_835
; %bb.830:
	s_cmp_gt_i32 s22, 3
	s_cbranch_scc0 .LBB7_832
; %bb.831:
	v_trunc_f64_e32 v[2:3], v[0:1]
	s_mov_b32 s23, 0
	v_ldexp_f64 v[6:7], v[2:3], 0xffffffe0
	v_floor_f64_e32 v[6:7], v[6:7]
	v_fma_f64 v[2:3], 0xc1f00000, v[6:7], v[2:3]
	v_cvt_i32_f64_e32 v7, v[6:7]
	v_cvt_u32_f64_e32 v6, v[2:3]
	global_store_dwordx2 v[4:5], v[6:7], off
.LBB7_832:
	s_andn2_b32 vcc_lo, exec_lo, s23
	s_cbranch_vccnz .LBB7_834
; %bb.833:
	v_cvt_i32_f64_e32 v2, v[0:1]
	global_store_dword v[4:5], v2, off
.LBB7_834:
	s_mov_b32 s23, 0
.LBB7_835:
	s_andn2_b32 vcc_lo, exec_lo, s23
	s_cbranch_vccnz .LBB7_837
; %bb.836:
	v_cvt_i32_f64_e32 v2, v[0:1]
	global_store_short v[4:5], v2, off
.LBB7_837:
	s_mov_b32 s23, 0
.LBB7_838:
	s_andn2_b32 vcc_lo, exec_lo, s23
	s_cbranch_vccnz .LBB7_843
; %bb.839:
	s_cmp_gt_i32 s22, 0
	s_mov_b32 s22, -1
	s_cbranch_scc0 .LBB7_841
; %bb.840:
	v_cvt_i32_f64_e32 v2, v[0:1]
	s_mov_b32 s22, 0
	global_store_byte v[4:5], v2, off
.LBB7_841:
	s_andn2_b32 vcc_lo, exec_lo, s22
	s_cbranch_vccnz .LBB7_843
; %bb.842:
	v_trunc_f64_e32 v[0:1], v[0:1]
	v_ldexp_f64 v[2:3], v[0:1], 0xffffffe0
	v_floor_f64_e32 v[2:3], v[2:3]
	v_fma_f64 v[0:1], 0xc1f00000, v[2:3], v[0:1]
	v_cvt_u32_f64_e32 v0, v[0:1]
	global_store_byte v[4:5], v0, off
.LBB7_843:
	s_mov_b32 s43, -1
.LBB7_844:
	s_andn2_b32 vcc_lo, exec_lo, s43
	s_cbranch_vccnz .LBB7_846
; %bb.845:
	v_add_nc_u32_e32 v8, 0x80, v8
	s_mov_b32 s43, -1
	s_branch .LBB7_848
.LBB7_846:
	s_mov_b32 s43, 0
.LBB7_847:
                                        ; implicit-def: $vgpr8
.LBB7_848:
	s_andn2_b32 s22, s40, exec_lo
	s_and_b32 s0, s0, exec_lo
	s_andn2_b32 s44, s39, exec_lo
	s_and_b32 s1, s1, exec_lo
	s_or_b32 s23, s22, s0
	s_or_b32 s22, s44, s1
	s_orn2_b32 s44, s43, exec_lo
.LBB7_849:
	s_or_b32 exec_lo, exec_lo, s42
	s_mov_b32 s0, 0
	s_mov_b32 s1, 0
	;; [unrolled: 1-line block ×3, first 2 shown]
                                        ; implicit-def: $vgpr0_vgpr1
                                        ; implicit-def: $vgpr2
                                        ; implicit-def: $vgpr3_vgpr4
	s_and_saveexec_b32 s42, s44
	s_cbranch_execz .LBB7_949
; %bb.850:
	v_cmp_gt_i32_e32 vcc_lo, s33, v8
	s_mov_b32 s45, s22
	s_mov_b32 s44, 0
                                        ; implicit-def: $vgpr0_vgpr1
                                        ; implicit-def: $vgpr2
                                        ; implicit-def: $vgpr3_vgpr4
	s_and_saveexec_b32 s33, vcc_lo
	s_cbranch_execz .LBB7_948
; %bb.851:
	s_andn2_b32 vcc_lo, exec_lo, s27
	s_cbranch_vccnz .LBB7_856
; %bb.852:
	s_andn2_b32 vcc_lo, exec_lo, s34
	s_cbranch_vccnz .LBB7_857
; %bb.853:
	s_add_i32 s35, s35, 1
	s_cmp_eq_u32 s25, 2
	s_cbranch_scc1 .LBB7_858
; %bb.854:
	v_mov_b32_e32 v0, 0
	v_mov_b32_e32 v2, 0
	;; [unrolled: 1-line block ×3, first 2 shown]
	s_and_b32 s34, s35, 28
	s_mov_b64 s[0:1], s[2:3]
.LBB7_855:                              ; =>This Inner Loop Header: Depth=1
	s_clause 0x1
	s_load_dwordx8 s[44:51], s[0:1], 0x4
	s_load_dwordx4 s[60:63], s[0:1], 0x24
	s_load_dwordx8 s[52:59], s[20:21], 0x0
	s_add_u32 s0, s0, 48
	s_addc_u32 s1, s1, 0
	s_add_i32 s43, s43, 4
	s_add_u32 s20, s20, 32
	s_addc_u32 s21, s21, 0
	s_cmp_eq_u32 s34, s43
	s_waitcnt vmcnt(0) lgkmcnt(0)
	v_mul_hi_u32 v3, s45, v1
	v_add_nc_u32_e32 v3, v1, v3
	v_lshrrev_b32_e32 v3, s46, v3
	v_mul_hi_u32 v4, s48, v3
	v_mul_lo_u32 v6, v3, s44
	v_add_nc_u32_e32 v4, v3, v4
	v_sub_nc_u32_e32 v1, v1, v6
	v_lshrrev_b32_e32 v4, s49, v4
	v_mul_lo_u32 v6, v1, s52
	v_mul_lo_u32 v9, v1, s53
	v_mul_hi_u32 v5, s51, v4
	v_add_nc_u32_e32 v5, v4, v5
	v_lshrrev_b32_e32 v5, s60, v5
	v_mul_hi_u32 v7, s62, v5
	v_mul_lo_u32 v10, v5, s50
	v_add_nc_u32_e32 v1, v5, v7
	v_mul_lo_u32 v7, v4, s47
	v_sub_nc_u32_e32 v4, v4, v10
	v_lshrrev_b32_e32 v1, s63, v1
	v_mul_lo_u32 v10, v4, s56
	v_mul_lo_u32 v4, v4, s57
	v_sub_nc_u32_e32 v3, v3, v7
	v_mul_lo_u32 v11, v1, s61
	v_mul_lo_u32 v7, v3, s54
	;; [unrolled: 1-line block ×3, first 2 shown]
	v_sub_nc_u32_e32 v5, v5, v11
	v_add3_u32 v2, v6, v2, v7
	v_mul_lo_u32 v11, v5, s58
	v_mul_lo_u32 v5, v5, s59
	v_add3_u32 v0, v9, v0, v3
	v_add3_u32 v2, v10, v2, v11
	;; [unrolled: 1-line block ×3, first 2 shown]
	s_cbranch_scc0 .LBB7_855
	s_branch .LBB7_859
.LBB7_856:
	s_mov_b32 s0, -1
                                        ; implicit-def: $vgpr2
                                        ; implicit-def: $vgpr0
	s_branch .LBB7_863
.LBB7_857:
	v_mov_b32_e32 v2, 0
	v_mov_b32_e32 v0, 0
	s_branch .LBB7_862
.LBB7_858:
	v_mov_b32_e32 v2, 0
	v_mov_b32_e32 v0, 0
	;; [unrolled: 1-line block ×3, first 2 shown]
	s_mov_b32 s34, 0
.LBB7_859:
	s_and_b32 s35, s35, 3
	s_cmp_eq_u32 s35, 0
	s_cbranch_scc1 .LBB7_862
; %bb.860:
	s_lshl_b32 s0, s34, 3
	s_mul_i32 s20, s34, 12
	s_add_u32 s0, s2, s0
	s_addc_u32 s1, s3, 0
	s_add_u32 s0, s0, 0xc4
	s_addc_u32 s1, s1, 0
	;; [unrolled: 2-line block ×3, first 2 shown]
.LBB7_861:                              ; =>This Inner Loop Header: Depth=1
	s_clause 0x1
	s_load_dwordx2 s[44:45], s[20:21], 0x4
	s_load_dword s34, s[20:21], 0xc
	s_load_dwordx2 s[46:47], s[0:1], 0x0
	s_add_u32 s20, s20, 12
	s_addc_u32 s21, s21, 0
	s_add_u32 s0, s0, 8
	s_addc_u32 s1, s1, 0
	s_add_i32 s35, s35, -1
	s_cmp_lg_u32 s35, 0
	s_waitcnt vmcnt(0) lgkmcnt(0)
	v_mul_hi_u32 v3, s45, v1
	v_add_nc_u32_e32 v3, v1, v3
	v_lshrrev_b32_e32 v4, s34, v3
	v_mul_lo_u32 v3, v4, s44
	v_sub_nc_u32_e32 v1, v1, v3
	v_mad_u64_u32 v[2:3], null, v1, s46, v[2:3]
	v_mad_u64_u32 v[0:1], null, v1, s47, v[0:1]
	v_mov_b32_e32 v1, v4
	s_cbranch_scc1 .LBB7_861
.LBB7_862:
	s_mov_b32 s0, 0
.LBB7_863:
	s_andn2_b32 vcc_lo, exec_lo, s0
	s_cbranch_vccnz .LBB7_866
; %bb.864:
	s_waitcnt lgkmcnt(0)
	v_mul_hi_u32 v0, s17, v8
	s_andn2_b32 vcc_lo, exec_lo, s31
	v_add_nc_u32_e32 v0, v8, v0
	v_lshrrev_b32_e32 v1, s18, v0
	v_mul_lo_u32 v0, v1, s16
	v_sub_nc_u32_e32 v0, v8, v0
	v_mul_lo_u32 v2, v0, s12
	v_mul_lo_u32 v0, v0, s13
	s_cbranch_vccnz .LBB7_866
; %bb.865:
	s_waitcnt vmcnt(0)
	v_mul_hi_u32 v3, s6, v1
	v_add_nc_u32_e32 v3, v1, v3
	v_lshrrev_b32_e32 v3, s7, v3
	v_mul_lo_u32 v3, v3, s19
	v_sub_nc_u32_e32 v1, v1, v3
	v_mad_u64_u32 v[2:3], null, v1, s14, v[2:3]
	v_mad_u64_u32 v[0:1], null, v1, s15, v[0:1]
.LBB7_866:
	s_waitcnt lgkmcnt(0)
	v_add_co_u32 v0, s0, s10, v0
	v_add_co_ci_u32_e64 v1, null, s11, 0, s0
	s_and_b32 s0, 0xffff, s30
	s_cmp_lt_i32 s0, 11
	s_cbranch_scc1 .LBB7_873
; %bb.867:
	s_cmp_gt_i32 s0, 25
	s_mov_b32 s6, 0
	s_cbranch_scc0 .LBB7_874
; %bb.868:
	s_cmp_gt_i32 s0, 28
	s_cbranch_scc0 .LBB7_875
; %bb.869:
	s_cmp_gt_i32 s0, 43
	;; [unrolled: 3-line block ×3, first 2 shown]
	s_cbranch_scc0 .LBB7_879
; %bb.871:
	s_cmp_eq_u32 s0, 46
	s_mov_b32 s10, 0
	s_cbranch_scc0 .LBB7_882
; %bb.872:
	global_load_dword v3, v[0:1], off
	s_mov_b32 s1, 0
	s_mov_b32 s7, -1
	s_waitcnt vmcnt(0)
	v_lshlrev_b32_e32 v3, 16, v3
	v_cvt_f64_f32_e32 v[3:4], v3
	s_branch .LBB7_884
.LBB7_873:
	s_mov_b32 s0, -1
	s_mov_b32 s7, 0
	s_mov_b32 s6, 0
	;; [unrolled: 1-line block ×3, first 2 shown]
                                        ; implicit-def: $vgpr3_vgpr4
	s_branch .LBB7_947
.LBB7_874:
	s_mov_b32 s10, -1
	s_mov_b32 s7, 0
	s_mov_b32 s1, s22
                                        ; implicit-def: $vgpr3_vgpr4
	s_branch .LBB7_915
.LBB7_875:
	s_mov_b32 s10, -1
	s_mov_b32 s7, 0
	s_mov_b32 s1, s22
                                        ; implicit-def: $vgpr3_vgpr4
	s_branch .LBB7_894
.LBB7_876:
	s_mov_b32 s10, -1
	s_mov_b32 s7, 0
	s_mov_b32 s1, s22
                                        ; implicit-def: $vgpr3_vgpr4
	s_branch .LBB7_889
.LBB7_877:
	s_andn2_saveexec_b32 s45, s45
	s_cbranch_execz .LBB7_757
.LBB7_878:
	v_add_f32_e64 v3, 0x46000000, |v2|
	s_andn2_b32 s44, s44, exec_lo
	v_and_b32_e32 v3, 0xff, v3
	v_cmp_ne_u32_e32 vcc_lo, 0, v3
	s_and_b32 s46, vcc_lo, exec_lo
	s_or_b32 s44, s44, s46
	s_or_b32 exec_lo, exec_lo, s45
	v_mov_b32_e32 v6, 0
	s_and_saveexec_b32 s45, s44
	s_cbranch_execnz .LBB7_758
	s_branch .LBB7_759
.LBB7_879:
	s_mov_b32 s10, -1
	s_mov_b32 s7, 0
	s_mov_b32 s1, s22
	s_branch .LBB7_883
.LBB7_880:
	s_andn2_saveexec_b32 s45, s45
	s_cbranch_execz .LBB7_770
.LBB7_881:
	v_add_f32_e64 v3, 0x42800000, |v2|
	s_andn2_b32 s44, s44, exec_lo
	v_and_b32_e32 v3, 0xff, v3
	v_cmp_ne_u32_e32 vcc_lo, 0, v3
	s_and_b32 s46, vcc_lo, exec_lo
	s_or_b32 s44, s44, s46
	s_or_b32 exec_lo, exec_lo, s45
	v_mov_b32_e32 v6, 0
	s_and_saveexec_b32 s45, s44
	s_cbranch_execnz .LBB7_771
	s_branch .LBB7_772
.LBB7_882:
	s_mov_b32 s1, -1
	s_mov_b32 s7, 0
.LBB7_883:
                                        ; implicit-def: $vgpr3_vgpr4
.LBB7_884:
	s_and_b32 vcc_lo, exec_lo, s10
	s_cbranch_vccz .LBB7_888
; %bb.885:
	s_cmp_eq_u32 s0, 44
	s_cbranch_scc0 .LBB7_887
; %bb.886:
	global_load_ubyte v5, v[0:1], off
	s_mov_b32 s1, 0
	s_mov_b32 s7, -1
	s_waitcnt vmcnt(0)
	v_lshlrev_b32_e32 v3, 23, v5
	v_cmp_ne_u32_e32 vcc_lo, 0xff, v5
	v_cvt_f64_f32_e32 v[3:4], v3
	v_cndmask_b32_e32 v3, 0x20000000, v3, vcc_lo
	v_cndmask_b32_e32 v4, 0x7ff80000, v4, vcc_lo
	v_cmp_ne_u32_e32 vcc_lo, 0, v5
	v_cndmask_b32_e32 v4, 0x38000000, v4, vcc_lo
	v_cndmask_b32_e32 v3, 0, v3, vcc_lo
	s_branch .LBB7_888
.LBB7_887:
	s_mov_b32 s1, -1
                                        ; implicit-def: $vgpr3_vgpr4
.LBB7_888:
	s_mov_b32 s10, 0
.LBB7_889:
	s_and_b32 vcc_lo, exec_lo, s10
	s_cbranch_vccz .LBB7_893
; %bb.890:
	s_cmp_eq_u32 s0, 29
	s_cbranch_scc0 .LBB7_892
; %bb.891:
	global_load_dwordx2 v[3:4], v[0:1], off
	s_mov_b32 s1, 0
	s_mov_b32 s7, -1
	s_mov_b32 s10, 0
	s_waitcnt vmcnt(0)
	v_cvt_f64_u32_e32 v[4:5], v4
	v_cvt_f64_u32_e32 v[6:7], v3
	v_ldexp_f64 v[4:5], v[4:5], 32
	v_add_f64 v[3:4], v[4:5], v[6:7]
	s_branch .LBB7_894
.LBB7_892:
	s_mov_b32 s1, -1
                                        ; implicit-def: $vgpr3_vgpr4
.LBB7_893:
	s_mov_b32 s10, 0
.LBB7_894:
	s_and_b32 vcc_lo, exec_lo, s10
	s_cbranch_vccz .LBB7_914
; %bb.895:
	s_cmp_lt_i32 s0, 27
	s_cbranch_scc1 .LBB7_898
; %bb.896:
	s_cmp_gt_i32 s0, 27
	s_cbranch_scc0 .LBB7_899
; %bb.897:
	global_load_dword v3, v[0:1], off
	s_mov_b32 s7, 0
	s_waitcnt vmcnt(0)
	v_cvt_f64_u32_e32 v[3:4], v3
	s_branch .LBB7_900
.LBB7_898:
	s_mov_b32 s7, -1
                                        ; implicit-def: $vgpr3_vgpr4
	s_branch .LBB7_903
.LBB7_899:
	s_mov_b32 s7, -1
                                        ; implicit-def: $vgpr3_vgpr4
.LBB7_900:
	s_andn2_b32 vcc_lo, exec_lo, s7
	s_cbranch_vccnz .LBB7_902
; %bb.901:
	global_load_ushort v3, v[0:1], off
	s_waitcnt vmcnt(0)
	v_cvt_f64_u32_e32 v[3:4], v3
.LBB7_902:
	s_mov_b32 s7, 0
.LBB7_903:
	s_andn2_b32 vcc_lo, exec_lo, s7
	s_cbranch_vccnz .LBB7_913
; %bb.904:
	global_load_ubyte v5, v[0:1], off
	s_mov_b32 s7, 0
	s_mov_b32 s10, exec_lo
	s_waitcnt vmcnt(0)
	v_cmpx_lt_i16_e32 0x7f, v5
	s_xor_b32 s10, exec_lo, s10
	s_cbranch_execz .LBB7_908
; %bb.905:
	s_mov_b32 s7, -1
	s_mov_b32 s11, exec_lo
	v_cmpx_eq_u16_e32 0x80, v5
; %bb.906:
	s_xor_b32 s7, exec_lo, -1
; %bb.907:
	s_or_b32 exec_lo, exec_lo, s11
	s_and_b32 s7, s7, exec_lo
.LBB7_908:
	s_or_saveexec_b32 s10, s10
	v_bfrev_b32_e32 v3, 4
	v_mov_b32_e32 v4, 0x7ff80000
	s_xor_b32 exec_lo, exec_lo, s10
; %bb.909:
	v_cmp_ne_u16_e32 vcc_lo, 0, v5
	v_mov_b32_e32 v3, 0
	v_mov_b32_e32 v4, 0
	s_andn2_b32 s7, s7, exec_lo
	s_and_b32 s11, vcc_lo, exec_lo
	s_or_b32 s7, s7, s11
; %bb.910:
	s_or_b32 exec_lo, exec_lo, s10
	s_and_saveexec_b32 s10, s7
	s_cbranch_execz .LBB7_912
; %bb.911:
	v_and_b32_e32 v3, 0xffff, v5
	v_lshlrev_b32_e32 v5, 24, v5
	v_and_b32_e32 v4, 7, v3
	v_bfe_u32 v8, v3, 3, 4
	v_ffbh_u32_e32 v6, v4
	v_cmp_eq_u32_e32 vcc_lo, 0, v8
	v_min_u32_e32 v6, 32, v6
	v_subrev_nc_u32_e32 v7, 28, v6
	v_sub_nc_u32_e32 v6, 29, v6
	v_lshlrev_b32_e32 v3, v7, v3
	v_cndmask_b32_e32 v6, v8, v6, vcc_lo
	v_and_b32_e32 v3, 7, v3
	v_cndmask_b32_e32 v3, v4, v3, vcc_lo
	v_and_b32_e32 v4, 0x80000000, v5
	v_lshl_add_u32 v5, v6, 23, 0x3b800000
	v_lshlrev_b32_e32 v3, 20, v3
	v_or3_b32 v3, v4, v5, v3
	v_cvt_f64_f32_e32 v[3:4], v3
.LBB7_912:
	s_or_b32 exec_lo, exec_lo, s10
.LBB7_913:
	s_mov_b32 s7, -1
.LBB7_914:
	s_mov_b32 s10, 0
.LBB7_915:
	s_and_b32 vcc_lo, exec_lo, s10
	s_cbranch_vccz .LBB7_946
; %bb.916:
	s_cmp_gt_i32 s0, 22
	s_cbranch_scc0 .LBB7_928
; %bb.917:
	s_cmp_lt_i32 s0, 24
	s_cbranch_scc1 .LBB7_929
; %bb.918:
	s_cmp_gt_i32 s0, 24
	s_cbranch_scc0 .LBB7_930
; %bb.919:
	global_load_ubyte v5, v[0:1], off
	s_mov_b32 s7, exec_lo
	s_waitcnt vmcnt(0)
	v_cmpx_lt_i16_e32 0x7f, v5
	s_xor_b32 s7, exec_lo, s7
	s_cbranch_execz .LBB7_923
; %bb.920:
	s_mov_b32 s6, -1
	s_mov_b32 s10, exec_lo
	v_cmpx_eq_u16_e32 0x80, v5
; %bb.921:
	s_xor_b32 s6, exec_lo, -1
; %bb.922:
	s_or_b32 exec_lo, exec_lo, s10
	s_and_b32 s6, s6, exec_lo
.LBB7_923:
	s_or_saveexec_b32 s7, s7
	v_bfrev_b32_e32 v3, 4
	v_mov_b32_e32 v4, 0x7ff80000
	s_xor_b32 exec_lo, exec_lo, s7
; %bb.924:
	v_cmp_ne_u16_e32 vcc_lo, 0, v5
	v_mov_b32_e32 v3, 0
	v_mov_b32_e32 v4, 0
	s_andn2_b32 s6, s6, exec_lo
	s_and_b32 s10, vcc_lo, exec_lo
	s_or_b32 s6, s6, s10
; %bb.925:
	s_or_b32 exec_lo, exec_lo, s7
	s_and_saveexec_b32 s7, s6
	s_cbranch_execz .LBB7_927
; %bb.926:
	v_and_b32_e32 v3, 0xffff, v5
	v_lshlrev_b32_e32 v5, 24, v5
	v_and_b32_e32 v4, 3, v3
	v_bfe_u32 v8, v3, 2, 5
	v_ffbh_u32_e32 v6, v4
	v_cmp_eq_u32_e32 vcc_lo, 0, v8
	v_min_u32_e32 v6, 32, v6
	v_subrev_nc_u32_e32 v7, 29, v6
	v_sub_nc_u32_e32 v6, 30, v6
	v_lshlrev_b32_e32 v3, v7, v3
	v_cndmask_b32_e32 v6, v8, v6, vcc_lo
	v_and_b32_e32 v3, 3, v3
	v_cndmask_b32_e32 v3, v4, v3, vcc_lo
	v_and_b32_e32 v4, 0x80000000, v5
	v_lshl_add_u32 v5, v6, 23, 0x37800000
	v_lshlrev_b32_e32 v3, 21, v3
	v_or3_b32 v3, v4, v5, v3
	v_cvt_f64_f32_e32 v[3:4], v3
.LBB7_927:
	s_or_b32 exec_lo, exec_lo, s7
	s_mov_b32 s6, 0
	s_branch .LBB7_931
.LBB7_928:
	s_mov_b32 s6, -1
                                        ; implicit-def: $vgpr3_vgpr4
	s_branch .LBB7_937
.LBB7_929:
	s_mov_b32 s6, -1
                                        ; implicit-def: $vgpr3_vgpr4
	s_branch .LBB7_934
.LBB7_930:
	s_mov_b32 s6, -1
                                        ; implicit-def: $vgpr3_vgpr4
.LBB7_931:
	s_and_b32 vcc_lo, exec_lo, s6
	s_cbranch_vccz .LBB7_933
; %bb.932:
	global_load_ubyte v3, v[0:1], off
	s_waitcnt vmcnt(0)
	v_lshlrev_b32_e32 v3, 24, v3
	v_and_b32_e32 v4, 0x7f000000, v3
	v_ffbh_u32_e32 v5, v4
	v_add_nc_u32_e32 v7, 0x1000000, v4
	v_cmp_ne_u32_e32 vcc_lo, 0, v4
	v_min_u32_e32 v5, 32, v5
	v_sub_nc_u32_e64 v5, v5, 4 clamp
	v_lshlrev_b32_e32 v6, v5, v4
	v_lshlrev_b32_e32 v5, 23, v5
	v_lshrrev_b32_e32 v6, 4, v6
	v_sub_nc_u32_e32 v5, v6, v5
	v_ashrrev_i32_e32 v6, 8, v7
	v_add_nc_u32_e32 v5, 0x3c000000, v5
	v_and_or_b32 v5, 0x7f800000, v6, v5
	v_cndmask_b32_e32 v4, 0, v5, vcc_lo
	v_and_or_b32 v3, 0x80000000, v3, v4
	v_cvt_f64_f32_e32 v[3:4], v3
.LBB7_933:
	s_mov_b32 s6, 0
.LBB7_934:
	s_andn2_b32 vcc_lo, exec_lo, s6
	s_cbranch_vccnz .LBB7_936
; %bb.935:
	global_load_ubyte v3, v[0:1], off
	s_waitcnt vmcnt(0)
	v_lshlrev_b32_e32 v4, 25, v3
	v_lshlrev_b16 v3, 8, v3
	v_lshrrev_b32_e32 v5, 4, v4
	v_and_or_b32 v6, 0x7f00, v3, 0.5
	v_cmp_gt_u32_e32 vcc_lo, 0x8000000, v4
	v_bfe_i32 v3, v3, 0, 16
	v_or_b32_e32 v5, 0x70000000, v5
	v_add_f32_e32 v6, -0.5, v6
	v_mul_f32_e32 v5, 0x7800000, v5
	v_cndmask_b32_e32 v4, v5, v6, vcc_lo
	v_and_or_b32 v3, 0x80000000, v3, v4
	v_cvt_f64_f32_e32 v[3:4], v3
.LBB7_936:
	s_mov_b32 s6, 0
	s_mov_b32 s7, -1
.LBB7_937:
	s_andn2_b32 vcc_lo, exec_lo, s6
	s_mov_b32 s6, 0
	s_cbranch_vccnz .LBB7_946
; %bb.938:
	s_cmp_gt_i32 s0, 14
	s_cbranch_scc0 .LBB7_941
; %bb.939:
	s_cmp_eq_u32 s0, 15
	s_cbranch_scc0 .LBB7_942
; %bb.940:
	global_load_ushort v3, v[0:1], off
	s_mov_b32 s1, 0
	s_mov_b32 s7, -1
	s_waitcnt vmcnt(0)
	v_lshlrev_b32_e32 v3, 16, v3
	v_cvt_f64_f32_e32 v[3:4], v3
	s_branch .LBB7_944
.LBB7_941:
	s_mov_b32 s6, -1
	s_branch .LBB7_943
.LBB7_942:
	s_mov_b32 s1, -1
.LBB7_943:
                                        ; implicit-def: $vgpr3_vgpr4
.LBB7_944:
	s_and_b32 vcc_lo, exec_lo, s6
	s_mov_b32 s6, 0
	s_cbranch_vccz .LBB7_946
; %bb.945:
	s_cmp_lg_u32 s0, 11
	s_mov_b32 s6, -1
	s_cselect_b32 s0, -1, 0
	s_andn2_b32 s1, s1, exec_lo
	s_and_b32 s0, s0, exec_lo
	s_or_b32 s1, s1, s0
.LBB7_946:
	s_mov_b32 s0, 0
.LBB7_947:
	s_and_b32 s43, s7, exec_lo
	s_andn2_b32 s7, s22, exec_lo
	s_and_b32 s1, s1, exec_lo
	s_and_b32 s44, s0, exec_lo
	;; [unrolled: 1-line block ×3, first 2 shown]
	s_or_b32 s45, s7, s1
.LBB7_948:
	s_or_b32 exec_lo, exec_lo, s33
	s_waitcnt lgkmcnt(0)
	s_andn2_b32 s6, s22, exec_lo
	s_and_b32 s7, s45, exec_lo
	s_and_b32 s43, s43, exec_lo
	;; [unrolled: 1-line block ×4, first 2 shown]
	s_or_b32 s22, s6, s7
.LBB7_949:
	s_or_b32 exec_lo, exec_lo, s42
	s_waitcnt lgkmcnt(0)
	s_andn2_b32 s6, s40, exec_lo
	s_and_b32 s7, s23, exec_lo
	s_and_b32 s42, s43, exec_lo
	s_or_b32 s40, s6, s7
	s_andn2_b32 s6, s39, exec_lo
	s_and_b32 s7, s22, exec_lo
	s_and_b32 s23, s1, exec_lo
	;; [unrolled: 1-line block ×3, first 2 shown]
	s_or_b32 s39, s6, s7
.LBB7_950:
	s_or_b32 exec_lo, exec_lo, s41
	s_andn2_b32 s0, s36, exec_lo
	s_waitcnt lgkmcnt(0)
	s_and_b32 s6, s40, exec_lo
	s_and_b32 s7, s39, exec_lo
	s_or_b32 s36, s0, s6
	s_andn2_b32 s6, s37, exec_lo
	s_and_b32 s0, s42, exec_lo
	s_and_b32 s22, s23, exec_lo
	;; [unrolled: 1-line block ×3, first 2 shown]
	s_or_b32 s37, s6, s7
	s_or_b32 exec_lo, exec_lo, s38
	s_mov_b32 s1, 0
	s_and_saveexec_b32 s6, s37
	s_cbranch_execz .LBB7_284
.LBB7_951:
	s_mov_b32 s1, exec_lo
	s_andn2_b32 s39, s39, exec_lo
	s_trap 2
	s_or_b32 exec_lo, exec_lo, s6
	s_and_saveexec_b32 s6, s39
	s_xor_b32 s6, exec_lo, s6
	s_cbranch_execnz .LBB7_285
.LBB7_952:
	s_or_b32 exec_lo, exec_lo, s6
	s_and_saveexec_b32 s6, s22
	s_cbranch_execz .LBB7_998
.LBB7_953:
	s_sext_i32_i16 s7, s30
	s_cmp_lt_i32 s7, 5
	s_cbranch_scc1 .LBB7_958
; %bb.954:
	s_cmp_lt_i32 s7, 8
	s_cbranch_scc1 .LBB7_959
; %bb.955:
	;; [unrolled: 3-line block ×3, first 2 shown]
	s_cmp_gt_i32 s7, 9
	s_cbranch_scc0 .LBB7_961
; %bb.957:
	global_load_dwordx2 v[3:4], v[0:1], off
	s_mov_b32 s7, 0
	s_branch .LBB7_962
.LBB7_958:
                                        ; implicit-def: $vgpr3_vgpr4
	s_branch .LBB7_979
.LBB7_959:
                                        ; implicit-def: $vgpr3_vgpr4
	s_branch .LBB7_968
.LBB7_960:
	s_mov_b32 s7, -1
                                        ; implicit-def: $vgpr3_vgpr4
	s_branch .LBB7_965
.LBB7_961:
	s_mov_b32 s7, -1
                                        ; implicit-def: $vgpr3_vgpr4
.LBB7_962:
	s_andn2_b32 vcc_lo, exec_lo, s7
	s_cbranch_vccnz .LBB7_964
; %bb.963:
	global_load_dword v3, v[0:1], off
	s_waitcnt vmcnt(0)
	v_cvt_f64_f32_e32 v[3:4], v3
.LBB7_964:
	s_mov_b32 s7, 0
.LBB7_965:
	s_andn2_b32 vcc_lo, exec_lo, s7
	s_cbranch_vccnz .LBB7_967
; %bb.966:
	global_load_dword v3, v[0:1], off
	s_waitcnt vmcnt(0)
	v_cvt_f32_f16_e32 v3, v3
	v_cvt_f64_f32_e32 v[3:4], v3
.LBB7_967:
	s_cbranch_execnz .LBB7_978
.LBB7_968:
	s_sext_i32_i16 s7, s30
	s_cmp_lt_i32 s7, 6
	s_cbranch_scc1 .LBB7_971
; %bb.969:
	s_cmp_gt_i32 s7, 6
	s_cbranch_scc0 .LBB7_972
; %bb.970:
	global_load_dwordx2 v[3:4], v[0:1], off
	s_mov_b32 s7, 0
	s_branch .LBB7_973
.LBB7_971:
	s_mov_b32 s7, -1
                                        ; implicit-def: $vgpr3_vgpr4
	s_branch .LBB7_976
.LBB7_972:
	s_mov_b32 s7, -1
                                        ; implicit-def: $vgpr3_vgpr4
.LBB7_973:
	s_andn2_b32 vcc_lo, exec_lo, s7
	s_cbranch_vccnz .LBB7_975
; %bb.974:
	global_load_dword v3, v[0:1], off
	s_waitcnt vmcnt(0)
	v_cvt_f64_f32_e32 v[3:4], v3
.LBB7_975:
	s_mov_b32 s7, 0
.LBB7_976:
	s_andn2_b32 vcc_lo, exec_lo, s7
	s_cbranch_vccnz .LBB7_978
; %bb.977:
	global_load_ushort v3, v[0:1], off
	s_waitcnt vmcnt(0)
	v_cvt_f32_f16_e32 v3, v3
	v_cvt_f64_f32_e32 v[3:4], v3
.LBB7_978:
	s_cbranch_execnz .LBB7_997
.LBB7_979:
	s_sext_i32_i16 s7, s30
	s_cmp_lt_i32 s7, 2
	s_cbranch_scc1 .LBB7_983
; %bb.980:
	s_cmp_lt_i32 s7, 3
	s_cbranch_scc1 .LBB7_984
; %bb.981:
	s_cmp_gt_i32 s7, 3
	s_cbranch_scc0 .LBB7_985
; %bb.982:
	global_load_dwordx2 v[3:4], v[0:1], off
	s_mov_b32 s7, 0
	s_waitcnt vmcnt(0)
	v_cvt_f64_i32_e32 v[4:5], v4
	v_cvt_f64_u32_e32 v[6:7], v3
	v_ldexp_f64 v[4:5], v[4:5], 32
	v_add_f64 v[3:4], v[4:5], v[6:7]
	s_branch .LBB7_986
.LBB7_983:
                                        ; implicit-def: $vgpr3_vgpr4
	s_branch .LBB7_992
.LBB7_984:
	s_mov_b32 s7, -1
                                        ; implicit-def: $vgpr3_vgpr4
	s_branch .LBB7_989
.LBB7_985:
	s_mov_b32 s7, -1
                                        ; implicit-def: $vgpr3_vgpr4
.LBB7_986:
	s_andn2_b32 vcc_lo, exec_lo, s7
	s_cbranch_vccnz .LBB7_988
; %bb.987:
	global_load_dword v3, v[0:1], off
	s_waitcnt vmcnt(0)
	v_cvt_f64_i32_e32 v[3:4], v3
.LBB7_988:
	s_mov_b32 s7, 0
.LBB7_989:
	s_andn2_b32 vcc_lo, exec_lo, s7
	s_cbranch_vccnz .LBB7_991
; %bb.990:
	global_load_sshort v3, v[0:1], off
	s_waitcnt vmcnt(0)
	v_cvt_f64_i32_e32 v[3:4], v3
.LBB7_991:
	s_cbranch_execnz .LBB7_997
.LBB7_992:
	s_sext_i32_i16 s7, s30
	s_cmp_gt_i32 s7, 0
	s_mov_b32 s7, 0
	s_cbranch_scc0 .LBB7_994
; %bb.993:
	global_load_sbyte v3, v[0:1], off
	s_waitcnt vmcnt(0)
	v_cvt_f64_i32_e32 v[3:4], v3
	s_branch .LBB7_995
.LBB7_994:
	s_mov_b32 s7, -1
                                        ; implicit-def: $vgpr3_vgpr4
.LBB7_995:
	s_andn2_b32 vcc_lo, exec_lo, s7
	s_cbranch_vccnz .LBB7_997
; %bb.996:
	global_load_ubyte v0, v[0:1], off
	s_waitcnt vmcnt(0)
	v_cvt_f64_u32_e32 v[3:4], v0
.LBB7_997:
	s_or_b32 s0, s0, exec_lo
.LBB7_998:
	s_or_b32 exec_lo, exec_lo, s6
	s_mov_b32 s11, 0
	s_mov_b32 s10, 0
                                        ; implicit-def: $sgpr7
                                        ; implicit-def: $vgpr5_vgpr6
                                        ; implicit-def: $vgpr0_vgpr1
	s_and_saveexec_b32 s6, s0
	s_cbranch_execz .LBB7_1016
; %bb.999:
	v_mov_b32_e32 v0, 0
	v_mov_b32_e32 v1, 0
	s_mov_b32 s7, exec_lo
	s_waitcnt vmcnt(0)
	v_cmpx_neq_f64_e64 0x7ff00000, |v[3:4]|
	s_cbranch_execz .LBB7_1009
; %bb.1000:
	s_mov_b32 s10, exec_lo
                                        ; implicit-def: $vgpr0_vgpr1
	v_cmpx_nlt_f64_e64 |v[3:4]|, 0.5
	s_xor_b32 s10, exec_lo, s10
	s_cbranch_execz .LBB7_1006
; %bb.1001:
	v_cmp_ngt_f64_e64 s0, 0x41d00000, |v[3:4]|
                                        ; implicit-def: $vgpr7
                                        ; implicit-def: $vgpr0_vgpr1
                                        ; implicit-def: $vgpr5_vgpr6
	s_and_saveexec_b32 s11, s0
	s_xor_b32 s0, exec_lo, s11
	s_cbranch_execz .LBB7_1003
; %bb.1002:
	v_ldexp_f64 v[0:1], |v[3:4]|, 0xffffff80
	v_cmp_le_f64_e64 vcc_lo, 0x7b000000, |v[3:4]|
	v_trig_preop_f64 v[5:6], |v[3:4]|, 0
	v_and_b32_e32 v7, 0x7fffffff, v4
	v_trig_preop_f64 v[17:18], |v[3:4]|, 2
	v_mov_b32_e32 v25, 0
	s_mov_b32 s12, 0x54442d18
	s_mov_b32 s13, 0x3ff921fb
	;; [unrolled: 1-line block ×4, first 2 shown]
	v_cndmask_b32_e32 v1, v7, v1, vcc_lo
	v_cndmask_b32_e32 v0, v3, v0, vcc_lo
	v_trig_preop_f64 v[7:8], |v[3:4]|, 1
	v_mul_f64 v[9:10], v[5:6], v[0:1]
	v_mul_f64 v[23:24], v[17:18], v[0:1]
	;; [unrolled: 1-line block ×3, first 2 shown]
	v_fma_f64 v[5:6], v[5:6], v[0:1], -v[9:10]
	v_fma_f64 v[7:8], v[7:8], v[0:1], -v[11:12]
	;; [unrolled: 1-line block ×3, first 2 shown]
	v_add_f64 v[13:14], v[11:12], v[5:6]
	v_add_f64 v[15:16], v[13:14], -v[11:12]
	v_add_f64 v[21:22], v[9:10], v[13:14]
	v_add_f64 v[19:20], v[13:14], -v[15:16]
	v_add_f64 v[5:6], v[5:6], -v[15:16]
	v_ldexp_f64 v[15:16], v[21:22], -2
	v_add_f64 v[9:10], v[21:22], -v[9:10]
	v_add_f64 v[11:12], v[11:12], -v[19:20]
	v_add_f64 v[19:20], v[23:24], v[7:8]
	v_cmp_neq_f64_e64 vcc_lo, 0x7ff00000, |v[15:16]|
	v_add_f64 v[9:10], v[13:14], -v[9:10]
	v_add_f64 v[5:6], v[5:6], v[11:12]
	v_fract_f64_e32 v[11:12], v[15:16]
	v_add_f64 v[13:14], v[19:20], v[5:6]
	v_ldexp_f64 v[11:12], v[11:12], 2
	v_add_f64 v[15:16], v[9:10], v[13:14]
	v_cndmask_b32_e32 v12, 0, v12, vcc_lo
	v_cndmask_b32_e32 v11, 0, v11, vcc_lo
	v_add_f64 v[21:22], v[15:16], v[11:12]
	v_add_f64 v[9:10], v[15:16], -v[9:10]
	v_cmp_gt_f64_e32 vcc_lo, 0, v[21:22]
	v_add_f64 v[21:22], v[19:20], -v[23:24]
	v_cndmask_b32_e64 v26, 0, 0x40100000, vcc_lo
	v_add_f64 v[30:31], v[19:20], -v[21:22]
	v_add_f64 v[7:8], v[7:8], -v[21:22]
	v_add_f64 v[11:12], v[11:12], v[25:26]
	v_add_f64 v[26:27], v[13:14], -v[19:20]
	v_add_f64 v[21:22], v[23:24], -v[30:31]
	v_add_f64 v[28:29], v[15:16], v[11:12]
	;; [unrolled: 3-line block ×3, first 2 shown]
	v_cvt_i32_f64_e32 v28, v[28:29]
	v_add_f64 v[19:20], v[19:20], -v[32:33]
	v_cvt_f64_i32_e32 v[26:27], v28
	v_add_f64 v[5:6], v[5:6], v[19:20]
	v_add_f64 v[11:12], v[11:12], -v[26:27]
	v_add_f64 v[5:6], v[7:8], v[5:6]
	v_add_f64 v[7:8], v[13:14], -v[9:10]
	v_add_f64 v[17:18], v[15:16], v[11:12]
	v_add_f64 v[0:1], v[0:1], v[5:6]
	v_add_f64 v[5:6], v[17:18], -v[11:12]
	v_cmp_le_f64_e32 vcc_lo, 0.5, v[17:18]
	v_add_f64 v[0:1], v[7:8], v[0:1]
	v_add_f64 v[5:6], v[15:16], -v[5:6]
	v_cndmask_b32_e64 v26, 0, 0x3ff00000, vcc_lo
	v_add_co_ci_u32_e64 v7, null, 0, v28, vcc_lo
	v_add_f64 v[0:1], v[0:1], v[5:6]
	v_add_f64 v[5:6], v[17:18], -v[25:26]
	v_add_f64 v[8:9], v[5:6], v[0:1]
	v_mul_f64 v[10:11], v[8:9], s[12:13]
	v_add_f64 v[5:6], v[8:9], -v[5:6]
	v_fma_f64 v[12:13], v[8:9], s[12:13], -v[10:11]
	v_add_f64 v[0:1], v[0:1], -v[5:6]
	v_fma_f64 v[5:6], v[8:9], s[14:15], v[12:13]
	v_fma_f64 v[5:6], v[0:1], s[12:13], v[5:6]
	v_add_f64 v[0:1], v[10:11], v[5:6]
	v_add_f64 v[8:9], v[0:1], -v[10:11]
	v_add_f64 v[5:6], v[5:6], -v[8:9]
.LBB7_1003:
	s_andn2_saveexec_b32 s0, s0
	s_cbranch_execz .LBB7_1005
; %bb.1004:
	s_mov_b32 s12, 0x6dc9c883
	s_mov_b32 s13, 0x3fe45f30
	;; [unrolled: 1-line block ×3, first 2 shown]
	v_mul_f64 v[0:1], |v[3:4]|, s[12:13]
	s_mov_b32 s12, 0x54442d18
	s_mov_b32 s13, 0xbff921fb
	;; [unrolled: 1-line block ×3, first 2 shown]
	v_rndne_f64_e32 v[7:8], v[0:1]
	v_fma_f64 v[0:1], v[7:8], s[12:13], |v[3:4]|
	v_mul_f64 v[5:6], v[7:8], s[14:15]
	s_mov_b32 s12, 0x252049c0
	s_mov_b32 s13, 0xb97b839a
	v_fma_f64 v[11:12], v[7:8], s[14:15], v[0:1]
	v_add_f64 v[9:10], v[0:1], v[5:6]
	s_mov_b32 s15, 0x3c91a626
	v_add_f64 v[0:1], v[0:1], -v[9:10]
	v_add_f64 v[9:10], v[9:10], -v[11:12]
	v_add_f64 v[0:1], v[0:1], v[5:6]
	v_fma_f64 v[5:6], v[7:8], s[14:15], v[5:6]
	v_add_f64 v[0:1], v[9:10], v[0:1]
	v_add_f64 v[0:1], v[0:1], -v[5:6]
	v_fma_f64 v[5:6], v[7:8], s[12:13], v[0:1]
	v_cvt_i32_f64_e32 v7, v[7:8]
	v_add_f64 v[0:1], v[11:12], v[5:6]
	v_add_f64 v[9:10], v[0:1], -v[11:12]
	v_add_f64 v[5:6], v[5:6], -v[9:10]
.LBB7_1005:
	s_or_b32 exec_lo, exec_lo, s0
	v_mul_f64 v[8:9], v[0:1], v[0:1]
	s_mov_b32 s12, 0xb42fdfa7
	s_mov_b32 s14, 0xf9a43bb8
	;; [unrolled: 1-line block ×6, first 2 shown]
	v_mul_f64 v[18:19], v[5:6], 0.5
	v_cmp_class_f64_e64 s0, v[3:4], 0x1f8
	v_fma_f64 v[10:11], v[8:9], s[14:15], s[12:13]
	s_mov_b32 s12, 0x9037ab78
	s_mov_b32 s14, 0x46cc5e42
	;; [unrolled: 1-line block ×4, first 2 shown]
	v_mul_f64 v[14:15], v[8:9], 0.5
	v_fma_f64 v[12:13], v[8:9], s[14:15], s[12:13]
	s_mov_b32 s12, 0xa17f65f6
	s_mov_b32 s14, 0x19e83e5c
	;; [unrolled: 1-line block ×4, first 2 shown]
	v_mul_f64 v[20:21], v[0:1], -v[8:9]
	v_fma_f64 v[10:11], v[8:9], v[10:11], s[16:17]
	v_add_f64 v[16:17], -v[14:15], 1.0
	v_fma_f64 v[12:13], v[8:9], v[12:13], s[12:13]
	s_mov_b32 s12, 0x19f4ec90
	s_mov_b32 s13, 0x3efa01a0
	v_fma_f64 v[10:11], v[8:9], v[10:11], s[14:15]
	s_mov_b32 s14, 0x11110bb3
	s_mov_b32 s15, 0x3f811111
	v_add_f64 v[22:23], -v[16:17], 1.0
	v_fma_f64 v[12:13], v[8:9], v[12:13], s[12:13]
	s_mov_b32 s12, 0x16c16967
	s_mov_b32 s13, 0xbf56c16c
	v_fma_f64 v[10:11], v[8:9], v[10:11], s[14:15]
	v_add_f64 v[14:15], v[22:23], -v[14:15]
	v_fma_f64 v[12:13], v[8:9], v[12:13], s[12:13]
	s_mov_b32 s13, 0x3fa55555
	s_mov_b32 s12, 0x55555555
	v_fma_f64 v[10:11], v[20:21], v[10:11], v[18:19]
	v_mul_f64 v[18:19], v[8:9], v[8:9]
	v_fma_f64 v[14:15], v[0:1], -v[5:6], v[14:15]
	v_fma_f64 v[12:13], v[8:9], v[12:13], s[12:13]
	s_mov_b32 s13, 0xbfc55555
	v_fma_f64 v[5:6], v[8:9], v[10:11], -v[5:6]
	v_fma_f64 v[8:9], v[18:19], v[12:13], v[14:15]
	v_fma_f64 v[5:6], v[20:21], s[12:13], v[5:6]
	v_add_f64 v[8:9], v[16:17], v[8:9]
	v_add_f64 v[0:1], v[0:1], -v[5:6]
	v_and_b32_e32 v5, 1, v7
	v_cmp_eq_u32_e32 vcc_lo, 0, v5
	v_lshlrev_b32_e32 v5, 30, v7
	v_xor_b32_e32 v5, v5, v4
	v_and_b32_e32 v5, 0x80000000, v5
	v_cndmask_b32_e32 v1, v9, v1, vcc_lo
	v_cndmask_b32_e32 v0, v8, v0, vcc_lo
	v_xor_b32_e32 v1, v1, v5
	v_cndmask_b32_e64 v0, 0, v0, s0
	v_cndmask_b32_e64 v1, 0x7ff80000, v1, s0
	v_div_scale_f64 v[5:6], null, v[3:4], v[3:4], v[0:1]
	v_rcp_f64_e32 v[7:8], v[5:6]
	v_fma_f64 v[9:10], -v[5:6], v[7:8], 1.0
	v_fma_f64 v[7:8], v[7:8], v[9:10], v[7:8]
	v_fma_f64 v[9:10], -v[5:6], v[7:8], 1.0
	v_fma_f64 v[7:8], v[7:8], v[9:10], v[7:8]
	v_div_scale_f64 v[9:10], vcc_lo, v[0:1], v[3:4], v[0:1]
	v_mul_f64 v[11:12], v[9:10], v[7:8]
	v_fma_f64 v[5:6], -v[5:6], v[11:12], v[9:10]
	v_div_fmas_f64 v[5:6], v[5:6], v[7:8], v[11:12]
	v_div_fixup_f64 v[0:1], v[5:6], v[3:4], v[0:1]
                                        ; implicit-def: $vgpr3_vgpr4
.LBB7_1006:
	s_andn2_saveexec_b32 s0, s10
	s_cbranch_execz .LBB7_1008
; %bb.1007:
	v_mul_f64 v[0:1], v[3:4], v[3:4]
	s_mov_b32 s10, 0x67f544e4
	s_mov_b32 s12, 0x13a86d09
	;; [unrolled: 1-line block ×4, first 2 shown]
	v_fma_f64 v[3:4], v[0:1], s[12:13], s[10:11]
	s_mov_b32 s10, 0xa556c734
	s_mov_b32 s11, 0x3ec71de3
	v_fma_f64 v[3:4], v[0:1], v[3:4], s[10:11]
	s_mov_b32 s10, 0x1a01a01a
	s_mov_b32 s11, 0xbf2a01a0
	;; [unrolled: 3-line block ×4, first 2 shown]
	v_fma_f64 v[3:4], v[0:1], v[3:4], s[10:11]
	v_fma_f64 v[0:1], v[0:1], v[3:4], 1.0
.LBB7_1008:
	s_or_b32 exec_lo, exec_lo, s0
.LBB7_1009:
	s_or_b32 exec_lo, exec_lo, s7
	v_add_co_u32 v5, s0, s8, v2
	v_add_co_ci_u32_e64 v6, null, s9, 0, s0
	s_and_b32 s7, s29, 0xff
	s_cmp_lt_i32 s7, 11
	s_cbranch_scc1 .LBB7_1019
; %bb.1010:
	s_and_b32 s8, 0xffff, s7
	s_mov_b32 s9, -1
	s_cmp_gt_i32 s8, 25
	s_mov_b32 s0, s36
	s_cbranch_scc0 .LBB7_1047
; %bb.1011:
	s_cmp_gt_i32 s8, 28
	s_mov_b32 s0, s36
	s_cbranch_scc0 .LBB7_1031
; %bb.1012:
	;; [unrolled: 4-line block ×4, first 2 shown]
	s_cmp_eq_u32 s8, 46
	s_mov_b32 s0, -1
	s_cbranch_scc0 .LBB7_1020
; %bb.1015:
	v_cvt_f32_f64_e32 v2, v[0:1]
	s_mov_b32 s0, 0
	s_mov_b32 s9, 0
	v_bfe_u32 v3, v2, 16, 1
	v_cmp_o_f32_e32 vcc_lo, v2, v2
	v_add3_u32 v2, v2, v3, 0x7fff
	v_mov_b32_e32 v3, 0x7fc0
	v_cndmask_b32_sdwa v2, v3, v2, vcc_lo dst_sel:DWORD dst_unused:UNUSED_PAD src0_sel:DWORD src1_sel:WORD_1
	global_store_dword v[5:6], v2, off
	s_branch .LBB7_1021
.LBB7_1016:
	s_or_b32 exec_lo, exec_lo, s6
	s_and_saveexec_b32 s0, s36
	s_cbranch_execnz .LBB7_1089
.LBB7_1017:
	s_or_b32 exec_lo, exec_lo, s0
	s_and_saveexec_b32 s0, s11
	s_xor_b32 s0, exec_lo, s0
	s_cbranch_execz .LBB7_1090
.LBB7_1018:
	v_cmp_neq_f64_e32 vcc_lo, 0, v[0:1]
	v_cndmask_b32_e64 v2, 0, 1, vcc_lo
	global_store_byte v[5:6], v2, off
	s_or_b32 exec_lo, exec_lo, s0
	s_and_saveexec_b32 s0, s10
	s_xor_b32 s0, exec_lo, s0
	s_cbranch_execz .LBB7_1128
	s_branch .LBB7_1091
.LBB7_1019:
	s_mov_b32 s11, 0
	s_mov_b32 s9, -1
	s_mov_b32 s0, s36
	s_branch .LBB7_1088
.LBB7_1020:
	s_mov_b32 s9, 0
.LBB7_1021:
	s_and_b32 vcc_lo, exec_lo, s9
	s_cbranch_vccz .LBB7_1026
; %bb.1022:
	s_cmp_eq_u32 s8, 44
	s_mov_b32 s0, -1
	s_cbranch_scc0 .LBB7_1026
; %bb.1023:
	v_cvt_f32_f64_e32 v2, v[0:1]
	v_mov_b32_e32 v3, 0xff
	s_mov_b32 s9, exec_lo
	v_bfe_u32 v4, v2, 23, 8
	v_cmpx_ne_u32_e32 0xff, v4
	s_cbranch_execz .LBB7_1025
; %bb.1024:
	v_and_b32_e32 v3, 0x400000, v2
	v_and_or_b32 v4, 0x3fffff, v2, v4
	v_lshrrev_b32_e32 v2, 23, v2
	v_cmp_ne_u32_e32 vcc_lo, 0, v3
	v_cmp_ne_u32_e64 s0, 0, v4
	s_and_b32 s0, vcc_lo, s0
	v_cndmask_b32_e64 v3, 0, 1, s0
	v_add_nc_u32_e32 v3, v2, v3
.LBB7_1025:
	s_or_b32 exec_lo, exec_lo, s9
	s_mov_b32 s0, 0
	global_store_byte v[5:6], v3, off
.LBB7_1026:
	s_mov_b32 s9, 0
.LBB7_1027:
	s_and_b32 vcc_lo, exec_lo, s9
	s_cbranch_vccz .LBB7_1030
; %bb.1028:
	s_cmp_eq_u32 s8, 29
	s_mov_b32 s0, -1
	s_cbranch_scc0 .LBB7_1030
; %bb.1029:
	v_trunc_f64_e32 v[2:3], v[0:1]
	s_mov_b32 s0, 0
	s_mov_b32 s9, 0
	v_ldexp_f64 v[7:8], v[2:3], 0xffffffe0
	v_floor_f64_e32 v[7:8], v[7:8]
	v_fma_f64 v[2:3], 0xc1f00000, v[7:8], v[2:3]
	v_cvt_u32_f64_e32 v4, v[7:8]
	v_cvt_u32_f64_e32 v3, v[2:3]
	global_store_dwordx2 v[5:6], v[3:4], off
	s_branch .LBB7_1031
.LBB7_1030:
	s_mov_b32 s9, 0
.LBB7_1031:
	s_and_b32 vcc_lo, exec_lo, s9
	s_cbranch_vccz .LBB7_1046
; %bb.1032:
	s_cmp_lt_i32 s8, 27
	s_mov_b32 s9, -1
	s_cbranch_scc1 .LBB7_1038
; %bb.1033:
	s_cmp_gt_i32 s8, 27
	s_cbranch_scc0 .LBB7_1035
; %bb.1034:
	v_cvt_u32_f64_e32 v2, v[0:1]
	s_mov_b32 s9, 0
	global_store_dword v[5:6], v2, off
.LBB7_1035:
	s_andn2_b32 vcc_lo, exec_lo, s9
	s_cbranch_vccnz .LBB7_1037
; %bb.1036:
	v_cvt_u32_f64_e32 v2, v[0:1]
	global_store_short v[5:6], v2, off
.LBB7_1037:
	s_mov_b32 s9, 0
.LBB7_1038:
	s_andn2_b32 vcc_lo, exec_lo, s9
	s_cbranch_vccnz .LBB7_1046
; %bb.1039:
	v_cvt_f32_f64_e32 v2, v[0:1]
	v_mov_b32_e32 v4, 0x80
	s_mov_b32 s9, exec_lo
	v_and_b32_e32 v3, 0x7fffffff, v2
	v_cmpx_gt_u32_e32 0x43800000, v3
	s_cbranch_execz .LBB7_1045
; %bb.1040:
	v_cmp_lt_u32_e32 vcc_lo, 0x3bffffff, v3
	s_mov_b32 s10, 0
                                        ; implicit-def: $vgpr3
	s_and_saveexec_b32 s11, vcc_lo
	s_xor_b32 s11, exec_lo, s11
	s_cbranch_execz .LBB7_1199
; %bb.1041:
	v_bfe_u32 v3, v2, 20, 1
	s_mov_b32 s10, exec_lo
	v_add3_u32 v3, v2, v3, 0x487ffff
	v_lshrrev_b32_e32 v3, 20, v3
	s_andn2_saveexec_b32 s11, s11
	s_cbranch_execnz .LBB7_1200
.LBB7_1042:
	s_or_b32 exec_lo, exec_lo, s11
	v_mov_b32_e32 v4, 0
	s_and_saveexec_b32 s11, s10
.LBB7_1043:
	v_lshrrev_b32_e32 v2, 24, v2
	v_and_or_b32 v4, 0x80, v2, v3
.LBB7_1044:
	s_or_b32 exec_lo, exec_lo, s11
.LBB7_1045:
	s_or_b32 exec_lo, exec_lo, s9
	global_store_byte v[5:6], v4, off
.LBB7_1046:
	s_mov_b32 s9, 0
.LBB7_1047:
	s_and_b32 vcc_lo, exec_lo, s9
	s_mov_b32 s9, 0
	s_cbranch_vccz .LBB7_1087
; %bb.1048:
	s_cmp_gt_i32 s8, 22
	s_mov_b32 s10, -1
	s_cbranch_scc0 .LBB7_1080
; %bb.1049:
	s_cmp_lt_i32 s8, 24
	s_cbranch_scc1 .LBB7_1069
; %bb.1050:
	s_cmp_gt_i32 s8, 24
	s_cbranch_scc0 .LBB7_1058
; %bb.1051:
	v_cvt_f32_f64_e32 v2, v[0:1]
	v_mov_b32_e32 v4, 0x80
	s_mov_b32 s10, exec_lo
	v_and_b32_e32 v3, 0x7fffffff, v2
	v_cmpx_gt_u32_e32 0x47800000, v3
	s_cbranch_execz .LBB7_1057
; %bb.1052:
	v_cmp_lt_u32_e32 vcc_lo, 0x37ffffff, v3
	s_mov_b32 s11, 0
                                        ; implicit-def: $vgpr3
	s_and_saveexec_b32 s12, vcc_lo
	s_xor_b32 s12, exec_lo, s12
	s_cbranch_execz .LBB7_1335
; %bb.1053:
	v_bfe_u32 v3, v2, 21, 1
	s_mov_b32 s11, exec_lo
	v_add3_u32 v3, v2, v3, 0x88fffff
	v_lshrrev_b32_e32 v3, 21, v3
	s_andn2_saveexec_b32 s12, s12
	s_cbranch_execnz .LBB7_1336
.LBB7_1054:
	s_or_b32 exec_lo, exec_lo, s12
	v_mov_b32_e32 v4, 0
	s_and_saveexec_b32 s12, s11
.LBB7_1055:
	v_lshrrev_b32_e32 v2, 24, v2
	v_and_or_b32 v4, 0x80, v2, v3
.LBB7_1056:
	s_or_b32 exec_lo, exec_lo, s12
.LBB7_1057:
	s_or_b32 exec_lo, exec_lo, s10
	s_mov_b32 s10, 0
	global_store_byte v[5:6], v4, off
.LBB7_1058:
	s_and_b32 vcc_lo, exec_lo, s10
	s_cbranch_vccz .LBB7_1068
; %bb.1059:
	v_cvt_f32_f64_e32 v2, v[0:1]
	s_mov_b32 s10, exec_lo
                                        ; implicit-def: $vgpr3
	v_and_b32_e32 v4, 0x7fffffff, v2
	v_cmpx_gt_u32_e32 0x43f00000, v4
	s_xor_b32 s10, exec_lo, s10
	s_cbranch_execz .LBB7_1065
; %bb.1060:
	s_mov_b32 s11, exec_lo
                                        ; implicit-def: $vgpr3
	v_cmpx_lt_u32_e32 0x3c7fffff, v4
	s_xor_b32 s11, exec_lo, s11
; %bb.1061:
	v_bfe_u32 v3, v2, 20, 1
	v_add3_u32 v3, v2, v3, 0x407ffff
	v_and_b32_e32 v4, 0xff00000, v3
	v_lshrrev_b32_e32 v3, 20, v3
	v_cmp_ne_u32_e32 vcc_lo, 0x7f00000, v4
	v_cndmask_b32_e32 v3, 0x7e, v3, vcc_lo
; %bb.1062:
	s_andn2_saveexec_b32 s11, s11
; %bb.1063:
	v_add_f32_e64 v3, 0x46800000, |v2|
; %bb.1064:
	s_or_b32 exec_lo, exec_lo, s11
                                        ; implicit-def: $vgpr4
.LBB7_1065:
	s_andn2_saveexec_b32 s10, s10
; %bb.1066:
	v_mov_b32_e32 v3, 0x7f
	v_cmp_lt_u32_e32 vcc_lo, 0x7f800000, v4
	v_cndmask_b32_e32 v3, 0x7e, v3, vcc_lo
; %bb.1067:
	s_or_b32 exec_lo, exec_lo, s10
	v_lshrrev_b32_e32 v2, 24, v2
	v_and_or_b32 v2, 0x80, v2, v3
	global_store_byte v[5:6], v2, off
.LBB7_1068:
	s_mov_b32 s10, 0
.LBB7_1069:
	s_andn2_b32 vcc_lo, exec_lo, s10
	s_cbranch_vccnz .LBB7_1079
; %bb.1070:
	v_cvt_f32_f64_e32 v2, v[0:1]
	s_mov_b32 s10, exec_lo
                                        ; implicit-def: $vgpr3
	v_and_b32_e32 v4, 0x7fffffff, v2
	v_cmpx_gt_u32_e32 0x47800000, v4
	s_xor_b32 s10, exec_lo, s10
	s_cbranch_execz .LBB7_1076
; %bb.1071:
	s_mov_b32 s11, exec_lo
                                        ; implicit-def: $vgpr3
	v_cmpx_lt_u32_e32 0x387fffff, v4
	s_xor_b32 s11, exec_lo, s11
; %bb.1072:
	v_bfe_u32 v3, v2, 21, 1
	v_add3_u32 v3, v2, v3, 0x80fffff
	v_lshrrev_b32_e32 v3, 21, v3
; %bb.1073:
	s_andn2_saveexec_b32 s11, s11
; %bb.1074:
	v_add_f32_e64 v3, 0x43000000, |v2|
; %bb.1075:
	s_or_b32 exec_lo, exec_lo, s11
                                        ; implicit-def: $vgpr4
.LBB7_1076:
	s_andn2_saveexec_b32 s10, s10
; %bb.1077:
	v_mov_b32_e32 v3, 0x7f
	v_cmp_lt_u32_e32 vcc_lo, 0x7f800000, v4
	v_cndmask_b32_e32 v3, 0x7c, v3, vcc_lo
; %bb.1078:
	s_or_b32 exec_lo, exec_lo, s10
	v_lshrrev_b32_e32 v2, 24, v2
	v_and_or_b32 v2, 0x80, v2, v3
	global_store_byte v[5:6], v2, off
.LBB7_1079:
	s_mov_b32 s10, 0
.LBB7_1080:
	s_andn2_b32 vcc_lo, exec_lo, s10
	s_mov_b32 s11, 0
	s_cbranch_vccnz .LBB7_1088
; %bb.1081:
	s_cmp_gt_i32 s8, 14
	s_mov_b32 s10, -1
	s_cbranch_scc0 .LBB7_1085
; %bb.1082:
	s_cmp_eq_u32 s8, 15
	s_mov_b32 s0, -1
	s_cbranch_scc0 .LBB7_1084
; %bb.1083:
	v_cvt_f32_f64_e32 v2, v[0:1]
	s_mov_b32 s0, 0
	v_bfe_u32 v3, v2, 16, 1
	v_cmp_o_f32_e32 vcc_lo, v2, v2
	v_add3_u32 v2, v2, v3, 0x7fff
	v_mov_b32_e32 v3, 0x7fc0
	v_cndmask_b32_sdwa v2, v3, v2, vcc_lo dst_sel:DWORD dst_unused:UNUSED_PAD src0_sel:DWORD src1_sel:WORD_1
	global_store_short v[5:6], v2, off
.LBB7_1084:
	s_mov_b32 s10, 0
.LBB7_1085:
	s_and_b32 vcc_lo, exec_lo, s10
	s_cbranch_vccz .LBB7_1088
; %bb.1086:
	s_cmp_lg_u32 s8, 11
	s_mov_b32 s11, -1
	s_cselect_b32 s8, -1, 0
	s_andn2_b32 s0, s0, exec_lo
	s_and_b32 s8, s8, exec_lo
	s_or_b32 s0, s0, s8
	s_branch .LBB7_1088
.LBB7_1087:
	s_mov_b32 s11, 0
.LBB7_1088:
	s_andn2_b32 s8, s36, exec_lo
	s_and_b32 s0, s0, exec_lo
	s_and_b32 s10, s9, exec_lo
	;; [unrolled: 1-line block ×3, first 2 shown]
	s_or_b32 s36, s8, s0
	s_or_b32 exec_lo, exec_lo, s6
	s_and_saveexec_b32 s0, s36
	s_cbranch_execz .LBB7_1017
.LBB7_1089:
	s_or_b32 s1, s1, exec_lo
	s_andn2_b32 s11, s11, exec_lo
	s_trap 2
	s_or_b32 exec_lo, exec_lo, s0
	s_and_saveexec_b32 s0, s11
	s_xor_b32 s0, exec_lo, s0
	s_cbranch_execnz .LBB7_1018
.LBB7_1090:
	s_or_b32 exec_lo, exec_lo, s0
	s_and_saveexec_b32 s0, s10
	s_xor_b32 s0, exec_lo, s0
	s_cbranch_execz .LBB7_1128
.LBB7_1091:
	s_sext_i32_i16 s8, s7
	s_mov_b32 s6, -1
	s_cmp_lt_i32 s8, 5
	s_cbranch_scc1 .LBB7_1112
; %bb.1092:
	s_cmp_lt_i32 s8, 8
	s_cbranch_scc1 .LBB7_1102
; %bb.1093:
	;; [unrolled: 3-line block ×3, first 2 shown]
	s_cmp_gt_i32 s8, 9
	s_cbranch_scc0 .LBB7_1096
; %bb.1095:
	v_mov_b32_e32 v2, 0
	s_mov_b32 s6, 0
	s_waitcnt vmcnt(0)
	v_mov_b32_e32 v3, v2
	global_store_dwordx4 v[5:6], v[0:3], off
.LBB7_1096:
	s_andn2_b32 vcc_lo, exec_lo, s6
	s_cbranch_vccnz .LBB7_1098
; %bb.1097:
	v_cvt_f32_f64_e32 v2, v[0:1]
	s_waitcnt vmcnt(0)
	v_mov_b32_e32 v3, 0
	global_store_dwordx2 v[5:6], v[2:3], off
.LBB7_1098:
	s_mov_b32 s6, 0
.LBB7_1099:
	s_andn2_b32 vcc_lo, exec_lo, s6
	s_cbranch_vccnz .LBB7_1101
; %bb.1100:
	v_and_or_b32 v2, 0x1ff, v1, v0
	s_waitcnt vmcnt(0)
	v_lshrrev_b32_e32 v3, 8, v1
	v_bfe_u32 v4, v1, 20, 11
	v_cmp_ne_u32_e32 vcc_lo, 0, v2
	v_sub_nc_u32_e32 v7, 0x3f1, v4
	v_add_nc_u32_e32 v4, 0xfffffc10, v4
	v_cndmask_b32_e64 v2, 0, 1, vcc_lo
	v_and_or_b32 v2, 0xffe, v3, v2
	v_med3_i32 v3, v7, 0, 13
	v_or_b32_e32 v7, 0x1000, v2
	v_lshrrev_b32_e32 v8, v3, v7
	v_lshlrev_b32_e32 v3, v3, v8
	v_cmp_ne_u32_e32 vcc_lo, v3, v7
	v_lshl_or_b32 v7, v4, 12, v2
	v_cndmask_b32_e64 v3, 0, 1, vcc_lo
	v_cmp_gt_i32_e32 vcc_lo, 1, v4
	v_or_b32_e32 v3, v8, v3
	v_cndmask_b32_e32 v3, v7, v3, vcc_lo
	v_and_b32_e32 v7, 7, v3
	v_lshrrev_b32_e32 v3, 2, v3
	v_cmp_lt_i32_e32 vcc_lo, 5, v7
	v_cndmask_b32_e64 v8, 0, 1, vcc_lo
	v_cmp_eq_u32_e32 vcc_lo, 3, v7
	v_cndmask_b32_e64 v7, 0, 1, vcc_lo
	v_cmp_ne_u32_e32 vcc_lo, 0, v2
	v_or_b32_e32 v7, v7, v8
	v_mov_b32_e32 v8, 0x7e00
	v_add_nc_u32_e32 v3, v3, v7
	v_cndmask_b32_e32 v2, 0x7c00, v8, vcc_lo
	v_cmp_gt_i32_e32 vcc_lo, 31, v4
	v_cndmask_b32_e32 v3, 0x7c00, v3, vcc_lo
	v_cmp_eq_u32_e32 vcc_lo, 0x40f, v4
	v_cndmask_b32_e32 v2, v3, v2, vcc_lo
	v_lshrrev_b32_e32 v3, 16, v1
	v_and_or_b32 v2, 0x8000, v3, v2
	v_and_b32_e32 v2, 0xffff, v2
	global_store_dword v[5:6], v2, off
.LBB7_1101:
	s_mov_b32 s6, 0
.LBB7_1102:
	s_andn2_b32 vcc_lo, exec_lo, s6
	s_cbranch_vccnz .LBB7_1111
; %bb.1103:
	s_sext_i32_i16 s8, s7
	s_mov_b32 s6, -1
	s_cmp_lt_i32 s8, 6
	s_cbranch_scc1 .LBB7_1109
; %bb.1104:
	s_cmp_gt_i32 s8, 6
	s_cbranch_scc0 .LBB7_1106
; %bb.1105:
	s_mov_b32 s6, 0
	global_store_dwordx2 v[5:6], v[0:1], off
.LBB7_1106:
	s_andn2_b32 vcc_lo, exec_lo, s6
	s_cbranch_vccnz .LBB7_1108
; %bb.1107:
	v_cvt_f32_f64_e32 v2, v[0:1]
	global_store_dword v[5:6], v2, off
.LBB7_1108:
	s_mov_b32 s6, 0
.LBB7_1109:
	s_andn2_b32 vcc_lo, exec_lo, s6
	s_cbranch_vccnz .LBB7_1111
; %bb.1110:
	v_and_or_b32 v2, 0x1ff, v1, v0
	s_waitcnt vmcnt(0)
	v_lshrrev_b32_e32 v3, 8, v1
	v_bfe_u32 v4, v1, 20, 11
	v_cmp_ne_u32_e32 vcc_lo, 0, v2
	v_sub_nc_u32_e32 v7, 0x3f1, v4
	v_add_nc_u32_e32 v4, 0xfffffc10, v4
	v_cndmask_b32_e64 v2, 0, 1, vcc_lo
	v_and_or_b32 v2, 0xffe, v3, v2
	v_med3_i32 v3, v7, 0, 13
	v_or_b32_e32 v7, 0x1000, v2
	v_lshrrev_b32_e32 v8, v3, v7
	v_lshlrev_b32_e32 v3, v3, v8
	v_cmp_ne_u32_e32 vcc_lo, v3, v7
	v_lshl_or_b32 v7, v4, 12, v2
	v_cndmask_b32_e64 v3, 0, 1, vcc_lo
	v_cmp_gt_i32_e32 vcc_lo, 1, v4
	v_or_b32_e32 v3, v8, v3
	v_cndmask_b32_e32 v3, v7, v3, vcc_lo
	v_and_b32_e32 v7, 7, v3
	v_lshrrev_b32_e32 v3, 2, v3
	v_cmp_lt_i32_e32 vcc_lo, 5, v7
	v_cndmask_b32_e64 v8, 0, 1, vcc_lo
	v_cmp_eq_u32_e32 vcc_lo, 3, v7
	v_cndmask_b32_e64 v7, 0, 1, vcc_lo
	v_cmp_ne_u32_e32 vcc_lo, 0, v2
	v_or_b32_e32 v7, v7, v8
	v_mov_b32_e32 v8, 0x7e00
	v_add_nc_u32_e32 v3, v3, v7
	v_cndmask_b32_e32 v2, 0x7c00, v8, vcc_lo
	v_cmp_gt_i32_e32 vcc_lo, 31, v4
	v_cndmask_b32_e32 v3, 0x7c00, v3, vcc_lo
	v_cmp_eq_u32_e32 vcc_lo, 0x40f, v4
	v_cndmask_b32_e32 v2, v3, v2, vcc_lo
	v_lshrrev_b32_e32 v3, 16, v1
	v_and_or_b32 v2, 0x8000, v3, v2
	global_store_short v[5:6], v2, off
.LBB7_1111:
	s_mov_b32 s6, 0
.LBB7_1112:
	s_andn2_b32 vcc_lo, exec_lo, s6
	s_cbranch_vccnz .LBB7_1128
; %bb.1113:
	s_sext_i32_i16 s8, s7
	s_mov_b32 s6, -1
	s_cmp_lt_i32 s8, 2
	s_cbranch_scc1 .LBB7_1123
; %bb.1114:
	s_cmp_lt_i32 s8, 3
	s_cbranch_scc1 .LBB7_1120
; %bb.1115:
	s_cmp_gt_i32 s8, 3
	s_cbranch_scc0 .LBB7_1117
; %bb.1116:
	s_waitcnt vmcnt(0)
	v_trunc_f64_e32 v[2:3], v[0:1]
	s_mov_b32 s6, 0
	v_ldexp_f64 v[7:8], v[2:3], 0xffffffe0
	v_floor_f64_e32 v[7:8], v[7:8]
	v_fma_f64 v[2:3], 0xc1f00000, v[7:8], v[2:3]
	v_cvt_i32_f64_e32 v4, v[7:8]
	v_cvt_u32_f64_e32 v3, v[2:3]
	global_store_dwordx2 v[5:6], v[3:4], off
.LBB7_1117:
	s_andn2_b32 vcc_lo, exec_lo, s6
	s_cbranch_vccnz .LBB7_1119
; %bb.1118:
	v_cvt_i32_f64_e32 v2, v[0:1]
	global_store_dword v[5:6], v2, off
.LBB7_1119:
	s_mov_b32 s6, 0
.LBB7_1120:
	s_andn2_b32 vcc_lo, exec_lo, s6
	s_cbranch_vccnz .LBB7_1122
; %bb.1121:
	v_cvt_i32_f64_e32 v2, v[0:1]
	global_store_short v[5:6], v2, off
.LBB7_1122:
	s_mov_b32 s6, 0
.LBB7_1123:
	s_andn2_b32 vcc_lo, exec_lo, s6
	s_cbranch_vccnz .LBB7_1128
; %bb.1124:
	s_sext_i32_i16 s6, s7
	s_cmp_gt_i32 s6, 0
	s_mov_b32 s6, -1
	s_cbranch_scc0 .LBB7_1126
; %bb.1125:
	v_cvt_i32_f64_e32 v2, v[0:1]
	s_mov_b32 s6, 0
	global_store_byte v[5:6], v2, off
.LBB7_1126:
	s_andn2_b32 vcc_lo, exec_lo, s6
	s_cbranch_vccnz .LBB7_1128
; %bb.1127:
	v_trunc_f64_e32 v[0:1], v[0:1]
	s_waitcnt vmcnt(0)
	v_ldexp_f64 v[2:3], v[0:1], 0xffffffe0
	v_floor_f64_e32 v[2:3], v[2:3]
	v_fma_f64 v[0:1], 0xc1f00000, v[2:3], v[0:1]
	v_cvt_u32_f64_e32 v0, v[0:1]
	global_store_byte v[5:6], v0, off
.LBB7_1128:
	s_or_b32 exec_lo, exec_lo, s0
	s_and_b32 s12, s1, exec_lo
                                        ; implicit-def: $vgpr5
                                        ; implicit-def: $vgpr8
.LBB7_1129:
	s_or_saveexec_b32 s13, s28
	s_mov_b32 s0, 0
                                        ; implicit-def: $vgpr0_vgpr1
                                        ; implicit-def: $sgpr6
                                        ; implicit-def: $vgpr12_vgpr13
	s_xor_b32 exec_lo, exec_lo, s13
	s_cbranch_execz .LBB7_1822
; %bb.1130:
	s_waitcnt vmcnt(0)
	v_cndmask_b32_e64 v4, 0, 1, s27
	s_andn2_b32 vcc_lo, exec_lo, s27
	s_cbranch_vccnz .LBB7_1136
; %bb.1131:
	s_cmp_lg_u32 s24, 0
	s_mov_b32 s8, 0
	s_cbranch_scc0 .LBB7_1137
; %bb.1132:
	s_min_u32 s10, s25, 15
	s_add_i32 s10, s10, 1
	s_cmp_eq_u32 s25, 2
	s_cbranch_scc1 .LBB7_1138
; %bb.1133:
	v_mov_b32_e32 v0, 0
	v_mov_b32_e32 v2, 0
	;; [unrolled: 1-line block ×3, first 2 shown]
	s_and_b32 s9, s10, 28
	s_add_u32 s0, s2, 0xc4
	s_addc_u32 s1, s3, 0
	s_mov_b32 s11, 0
	s_mov_b64 s[6:7], s[2:3]
.LBB7_1134:                             ; =>This Inner Loop Header: Depth=1
	s_clause 0x1
	s_load_dwordx8 s[16:23], s[6:7], 0x4
	s_load_dwordx4 s[28:31], s[6:7], 0x24
	s_load_dwordx8 s[36:43], s[0:1], 0x0
	s_add_u32 s6, s6, 48
	s_addc_u32 s7, s7, 0
	s_add_i32 s11, s11, 4
	s_add_u32 s0, s0, 32
	s_addc_u32 s1, s1, 0
	s_cmp_lg_u32 s9, s11
	s_waitcnt lgkmcnt(0)
	v_mul_hi_u32 v3, s17, v1
	v_add_nc_u32_e32 v3, v1, v3
	v_lshrrev_b32_e32 v3, s18, v3
	v_mul_hi_u32 v6, s20, v3
	v_mul_lo_u32 v9, v3, s16
	v_add_nc_u32_e32 v6, v3, v6
	v_sub_nc_u32_e32 v1, v1, v9
	v_lshrrev_b32_e32 v6, s21, v6
	v_mul_lo_u32 v9, v1, s36
	v_mul_lo_u32 v11, v1, s37
	v_mul_hi_u32 v7, s23, v6
	v_add_nc_u32_e32 v7, v6, v7
	v_lshrrev_b32_e32 v7, s28, v7
	v_mul_hi_u32 v10, s30, v7
	v_mul_lo_u32 v12, v7, s22
	v_add_nc_u32_e32 v1, v7, v10
	v_mul_lo_u32 v10, v6, s19
	v_sub_nc_u32_e32 v6, v6, v12
	v_lshrrev_b32_e32 v1, s31, v1
	v_mul_lo_u32 v12, v6, s40
	v_mul_lo_u32 v6, v6, s41
	v_sub_nc_u32_e32 v3, v3, v10
	v_mul_lo_u32 v13, v1, s29
	v_mul_lo_u32 v10, v3, s38
	;; [unrolled: 1-line block ×3, first 2 shown]
	v_sub_nc_u32_e32 v7, v7, v13
	v_add3_u32 v2, v9, v2, v10
	v_mul_lo_u32 v13, v7, s42
	v_mul_lo_u32 v7, v7, s43
	v_add3_u32 v0, v11, v0, v3
	v_add3_u32 v2, v12, v2, v13
	;; [unrolled: 1-line block ×3, first 2 shown]
	s_cbranch_scc1 .LBB7_1134
; %bb.1135:
	s_and_b32 s10, s10, 3
	s_cmp_eq_u32 s10, 0
	s_cbranch_scc0 .LBB7_1139
	s_branch .LBB7_1141
.LBB7_1136:
	s_mov_b32 s8, -1
                                        ; implicit-def: $vgpr2
                                        ; implicit-def: $vgpr0
	s_branch .LBB7_1141
.LBB7_1137:
	v_mov_b32_e32 v2, 0
	v_mov_b32_e32 v0, 0
	s_branch .LBB7_1141
.LBB7_1138:
	v_mov_b32_e32 v2, 0
	v_mov_b32_e32 v0, 0
	;; [unrolled: 1-line block ×3, first 2 shown]
	s_mov_b32 s9, 0
	s_and_b32 s10, s10, 3
	s_cmp_eq_u32 s10, 0
	s_cbranch_scc1 .LBB7_1141
.LBB7_1139:
	s_lshl_b32 s0, s9, 3
	s_mul_i32 s6, s9, 12
	s_add_u32 s0, s2, s0
	s_addc_u32 s1, s3, 0
	s_add_u32 s0, s0, 0xc4
	s_addc_u32 s1, s1, 0
	;; [unrolled: 2-line block ×3, first 2 shown]
	.p2align	6
.LBB7_1140:                             ; =>This Inner Loop Header: Depth=1
	s_clause 0x1
	s_load_dwordx2 s[14:15], s[6:7], 0x4
	s_load_dword s9, s[6:7], 0xc
	s_load_dwordx2 s[16:17], s[0:1], 0x0
	s_add_u32 s6, s6, 12
	s_addc_u32 s7, s7, 0
	s_add_u32 s0, s0, 8
	s_addc_u32 s1, s1, 0
	s_add_i32 s10, s10, -1
	s_cmp_lg_u32 s10, 0
	s_waitcnt lgkmcnt(0)
	v_mul_hi_u32 v3, s15, v1
	v_add_nc_u32_e32 v3, v1, v3
	v_lshrrev_b32_e32 v6, s9, v3
	v_mul_lo_u32 v3, v6, s14
	v_sub_nc_u32_e32 v1, v1, v3
	v_mad_u64_u32 v[2:3], null, v1, s16, v[2:3]
	v_mad_u64_u32 v[0:1], null, v1, s17, v[0:1]
	v_mov_b32_e32 v1, v6
	s_cbranch_scc1 .LBB7_1140
.LBB7_1141:
	s_andn2_b32 vcc_lo, exec_lo, s8
	s_cbranch_vccnz .LBB7_1144
; %bb.1142:
	s_clause 0x1
	s_load_dwordx4 s[8:11], s[2:3], 0x4
	s_load_dwordx2 s[0:1], s[2:3], 0xc4
	s_cmp_lt_u32 s24, 2
	s_waitcnt lgkmcnt(0)
	v_mul_hi_u32 v0, s9, v8
	v_add_nc_u32_e32 v0, v8, v0
	v_lshrrev_b32_e32 v1, s10, v0
	v_mul_lo_u32 v0, v1, s8
	v_sub_nc_u32_e32 v0, v8, v0
	v_mul_lo_u32 v2, v0, s0
	v_mul_lo_u32 v0, v0, s1
	s_cbranch_scc1 .LBB7_1144
; %bb.1143:
	s_clause 0x1
	s_load_dwordx4 s[8:11], s[2:3], 0x10
	s_load_dwordx2 s[0:1], s[2:3], 0xcc
	s_waitcnt lgkmcnt(0)
	v_mul_hi_u32 v3, s9, v1
	v_add_nc_u32_e32 v3, v1, v3
	v_lshrrev_b32_e32 v3, s10, v3
	v_mul_lo_u32 v3, v3, s8
	v_sub_nc_u32_e32 v1, v1, v3
	v_mad_u64_u32 v[2:3], null, v1, s0, v[2:3]
	v_mad_u64_u32 v[0:1], null, v1, s1, v[0:1]
.LBB7_1144:
	v_cmp_ne_u32_e32 vcc_lo, 1, v4
	v_add_nc_u32_e32 v1, 0x80, v8
	s_cbranch_vccnz .LBB7_1150
; %bb.1145:
	s_cmp_lg_u32 s24, 0
	s_mov_b32 s8, 0
	s_cbranch_scc0 .LBB7_1151
; %bb.1146:
	s_min_u32 s10, s25, 15
	s_add_i32 s10, s10, 1
	s_cmp_eq_u32 s25, 2
	s_cbranch_scc1 .LBB7_1152
; %bb.1147:
	v_mov_b32_e32 v9, 0
	v_mov_b32_e32 v6, 0
	;; [unrolled: 1-line block ×3, first 2 shown]
	s_and_b32 s9, s10, 28
	s_add_u32 s0, s2, 0xc4
	s_addc_u32 s1, s3, 0
	s_mov_b32 s11, 0
	s_mov_b64 s[6:7], s[2:3]
.LBB7_1148:                             ; =>This Inner Loop Header: Depth=1
	s_clause 0x1
	s_load_dwordx8 s[16:23], s[6:7], 0x4
	s_load_dwordx4 s[28:31], s[6:7], 0x24
	s_load_dwordx8 s[36:43], s[0:1], 0x0
	s_add_u32 s6, s6, 48
	s_addc_u32 s7, s7, 0
	s_add_i32 s11, s11, 4
	s_add_u32 s0, s0, 32
	s_addc_u32 s1, s1, 0
	s_cmp_lg_u32 s9, s11
	s_waitcnt lgkmcnt(0)
	v_mul_hi_u32 v7, s17, v3
	v_add_nc_u32_e32 v7, v3, v7
	v_lshrrev_b32_e32 v7, s18, v7
	v_mul_hi_u32 v10, s20, v7
	v_mul_lo_u32 v12, v7, s16
	v_add_nc_u32_e32 v10, v7, v10
	v_sub_nc_u32_e32 v3, v3, v12
	v_lshrrev_b32_e32 v10, s21, v10
	v_mul_lo_u32 v12, v3, s36
	v_mul_lo_u32 v14, v3, s37
	v_mul_hi_u32 v11, s23, v10
	v_add_nc_u32_e32 v11, v10, v11
	v_lshrrev_b32_e32 v11, s28, v11
	v_mul_hi_u32 v13, s30, v11
	v_mul_lo_u32 v15, v11, s22
	v_add_nc_u32_e32 v3, v11, v13
	v_mul_lo_u32 v13, v10, s19
	v_sub_nc_u32_e32 v10, v10, v15
	v_lshrrev_b32_e32 v3, s31, v3
	v_mul_lo_u32 v15, v10, s40
	v_mul_lo_u32 v10, v10, s41
	v_sub_nc_u32_e32 v7, v7, v13
	v_mul_lo_u32 v16, v3, s29
	v_mul_lo_u32 v13, v7, s38
	;; [unrolled: 1-line block ×3, first 2 shown]
	v_sub_nc_u32_e32 v11, v11, v16
	v_add3_u32 v6, v12, v6, v13
	v_mul_lo_u32 v16, v11, s42
	v_mul_lo_u32 v11, v11, s43
	v_add3_u32 v7, v14, v9, v7
	v_add3_u32 v6, v15, v6, v16
	v_add3_u32 v9, v10, v7, v11
	s_cbranch_scc1 .LBB7_1148
; %bb.1149:
	s_and_b32 s10, s10, 3
	s_cmp_eq_u32 s10, 0
	s_cbranch_scc0 .LBB7_1153
	s_branch .LBB7_1155
.LBB7_1150:
	s_mov_b32 s8, -1
                                        ; implicit-def: $vgpr6
                                        ; implicit-def: $vgpr9
	s_branch .LBB7_1155
.LBB7_1151:
	v_mov_b32_e32 v6, 0
	v_mov_b32_e32 v9, 0
	s_branch .LBB7_1155
.LBB7_1152:
	v_mov_b32_e32 v6, 0
	v_mov_b32_e32 v9, 0
	;; [unrolled: 1-line block ×3, first 2 shown]
	s_mov_b32 s9, 0
	s_and_b32 s10, s10, 3
	s_cmp_eq_u32 s10, 0
	s_cbranch_scc1 .LBB7_1155
.LBB7_1153:
	s_lshl_b32 s0, s9, 3
	s_mul_i32 s6, s9, 12
	s_add_u32 s0, s2, s0
	s_addc_u32 s1, s3, 0
	s_add_u32 s0, s0, 0xc4
	s_addc_u32 s1, s1, 0
	s_add_u32 s6, s2, s6
	s_addc_u32 s7, s3, 0
	.p2align	6
.LBB7_1154:                             ; =>This Inner Loop Header: Depth=1
	s_clause 0x1
	s_load_dwordx2 s[14:15], s[6:7], 0x4
	s_load_dword s9, s[6:7], 0xc
	s_load_dwordx2 s[16:17], s[0:1], 0x0
	s_add_u32 s6, s6, 12
	s_addc_u32 s7, s7, 0
	s_add_u32 s0, s0, 8
	s_addc_u32 s1, s1, 0
	s_add_i32 s10, s10, -1
	s_cmp_lg_u32 s10, 0
	s_waitcnt lgkmcnt(0)
	v_mul_hi_u32 v7, s15, v3
	v_add_nc_u32_e32 v7, v3, v7
	v_lshrrev_b32_e32 v11, s9, v7
	v_mul_lo_u32 v7, v11, s14
	v_sub_nc_u32_e32 v3, v3, v7
	v_mad_u64_u32 v[6:7], null, v3, s16, v[6:7]
	v_mad_u64_u32 v[9:10], null, v3, s17, v[9:10]
	v_mov_b32_e32 v3, v11
	s_cbranch_scc1 .LBB7_1154
.LBB7_1155:
	s_andn2_b32 vcc_lo, exec_lo, s8
	s_cbranch_vccnz .LBB7_1158
; %bb.1156:
	s_clause 0x1
	s_load_dwordx4 s[8:11], s[2:3], 0x4
	s_load_dwordx2 s[0:1], s[2:3], 0xc4
	s_cmp_lt_u32 s24, 2
	s_waitcnt lgkmcnt(0)
	v_mul_hi_u32 v3, s9, v1
	v_add_nc_u32_e32 v3, v1, v3
	v_lshrrev_b32_e32 v3, s10, v3
	v_mul_lo_u32 v6, v3, s8
	v_sub_nc_u32_e32 v1, v1, v6
	v_mul_lo_u32 v6, v1, s0
	v_mul_lo_u32 v9, v1, s1
	s_cbranch_scc1 .LBB7_1158
; %bb.1157:
	s_clause 0x1
	s_load_dwordx4 s[8:11], s[2:3], 0x10
	s_load_dwordx2 s[0:1], s[2:3], 0xcc
	s_waitcnt lgkmcnt(0)
	v_mul_hi_u32 v1, s9, v3
	v_add_nc_u32_e32 v1, v3, v1
	v_lshrrev_b32_e32 v1, s10, v1
	v_mul_lo_u32 v1, v1, s8
	v_sub_nc_u32_e32 v1, v3, v1
	v_mad_u64_u32 v[6:7], null, v1, s0, v[6:7]
	v_mad_u64_u32 v[9:10], null, v1, s1, v[9:10]
.LBB7_1158:
	v_cmp_ne_u32_e32 vcc_lo, 1, v4
	v_add_nc_u32_e32 v1, 0x100, v8
	s_cbranch_vccnz .LBB7_1164
; %bb.1159:
	s_cmp_lg_u32 s24, 0
	s_mov_b32 s8, 0
	s_cbranch_scc0 .LBB7_1165
; %bb.1160:
	s_min_u32 s10, s25, 15
	s_add_i32 s10, s10, 1
	s_cmp_eq_u32 s25, 2
	s_cbranch_scc1 .LBB7_1166
; %bb.1161:
	v_mov_b32_e32 v7, 0
	v_mov_b32_e32 v10, 0
	;; [unrolled: 1-line block ×3, first 2 shown]
	s_and_b32 s9, s10, 28
	s_add_u32 s0, s2, 0xc4
	s_addc_u32 s1, s3, 0
	s_mov_b32 s11, 0
	s_mov_b64 s[6:7], s[2:3]
.LBB7_1162:                             ; =>This Inner Loop Header: Depth=1
	s_clause 0x1
	s_load_dwordx8 s[16:23], s[6:7], 0x4
	s_load_dwordx4 s[28:31], s[6:7], 0x24
	s_load_dwordx8 s[36:43], s[0:1], 0x0
	s_add_u32 s6, s6, 48
	s_addc_u32 s7, s7, 0
	s_add_i32 s11, s11, 4
	s_add_u32 s0, s0, 32
	s_addc_u32 s1, s1, 0
	s_cmp_lg_u32 s9, s11
	s_waitcnt lgkmcnt(0)
	v_mul_hi_u32 v8, s17, v3
	v_add_nc_u32_e32 v8, v3, v8
	v_lshrrev_b32_e32 v8, s18, v8
	v_mul_hi_u32 v11, s20, v8
	v_mul_lo_u32 v13, v8, s16
	v_add_nc_u32_e32 v11, v8, v11
	v_sub_nc_u32_e32 v3, v3, v13
	v_lshrrev_b32_e32 v11, s21, v11
	v_mul_lo_u32 v13, v3, s36
	v_mul_lo_u32 v15, v3, s37
	v_mul_hi_u32 v12, s23, v11
	v_add_nc_u32_e32 v12, v11, v12
	v_lshrrev_b32_e32 v12, s28, v12
	v_mul_hi_u32 v14, s30, v12
	v_mul_lo_u32 v16, v12, s22
	v_add_nc_u32_e32 v3, v12, v14
	v_mul_lo_u32 v14, v11, s19
	v_sub_nc_u32_e32 v11, v11, v16
	v_lshrrev_b32_e32 v3, s31, v3
	v_mul_lo_u32 v16, v11, s40
	v_mul_lo_u32 v11, v11, s41
	v_sub_nc_u32_e32 v8, v8, v14
	v_mul_lo_u32 v17, v3, s29
	v_mul_lo_u32 v14, v8, s38
	;; [unrolled: 1-line block ×3, first 2 shown]
	v_sub_nc_u32_e32 v12, v12, v17
	v_add3_u32 v10, v13, v10, v14
	v_mul_lo_u32 v17, v12, s42
	v_mul_lo_u32 v12, v12, s43
	v_add3_u32 v7, v15, v7, v8
	v_add3_u32 v10, v16, v10, v17
	;; [unrolled: 1-line block ×3, first 2 shown]
	s_cbranch_scc1 .LBB7_1162
; %bb.1163:
	s_and_b32 s10, s10, 3
	s_cmp_eq_u32 s10, 0
	s_cbranch_scc0 .LBB7_1167
	s_branch .LBB7_1169
.LBB7_1164:
	s_mov_b32 s8, -1
                                        ; implicit-def: $vgpr10
                                        ; implicit-def: $vgpr7
	s_branch .LBB7_1169
.LBB7_1165:
	v_mov_b32_e32 v10, 0
	v_mov_b32_e32 v7, 0
	s_branch .LBB7_1169
.LBB7_1166:
	v_mov_b32_e32 v10, 0
	v_mov_b32_e32 v7, 0
	;; [unrolled: 1-line block ×3, first 2 shown]
	s_mov_b32 s9, 0
	s_and_b32 s10, s10, 3
	s_cmp_eq_u32 s10, 0
	s_cbranch_scc1 .LBB7_1169
.LBB7_1167:
	s_lshl_b32 s0, s9, 3
	s_mul_i32 s6, s9, 12
	s_add_u32 s0, s2, s0
	s_addc_u32 s1, s3, 0
	s_add_u32 s0, s0, 0xc4
	s_addc_u32 s1, s1, 0
	;; [unrolled: 2-line block ×3, first 2 shown]
	.p2align	6
.LBB7_1168:                             ; =>This Inner Loop Header: Depth=1
	s_clause 0x1
	s_load_dwordx2 s[14:15], s[6:7], 0x4
	s_load_dword s9, s[6:7], 0xc
	s_load_dwordx2 s[16:17], s[0:1], 0x0
	s_add_u32 s6, s6, 12
	s_addc_u32 s7, s7, 0
	s_add_u32 s0, s0, 8
	s_addc_u32 s1, s1, 0
	s_add_i32 s10, s10, -1
	s_cmp_lg_u32 s10, 0
	s_waitcnt lgkmcnt(0)
	v_mul_hi_u32 v8, s15, v3
	v_add_nc_u32_e32 v8, v3, v8
	v_lshrrev_b32_e32 v12, s9, v8
	v_mul_lo_u32 v8, v12, s14
	v_sub_nc_u32_e32 v3, v3, v8
	v_mad_u64_u32 v[10:11], null, v3, s16, v[10:11]
	v_mad_u64_u32 v[7:8], null, v3, s17, v[7:8]
	v_mov_b32_e32 v3, v12
	s_cbranch_scc1 .LBB7_1168
.LBB7_1169:
	s_andn2_b32 vcc_lo, exec_lo, s8
	s_cbranch_vccnz .LBB7_1172
; %bb.1170:
	s_clause 0x1
	s_load_dwordx4 s[8:11], s[2:3], 0x4
	s_load_dwordx2 s[0:1], s[2:3], 0xc4
	s_cmp_lt_u32 s24, 2
	s_waitcnt lgkmcnt(0)
	v_mul_hi_u32 v3, s9, v1
	v_add_nc_u32_e32 v3, v1, v3
	v_lshrrev_b32_e32 v3, s10, v3
	v_mul_lo_u32 v7, v3, s8
	v_sub_nc_u32_e32 v1, v1, v7
	v_mul_lo_u32 v10, v1, s0
	v_mul_lo_u32 v7, v1, s1
	s_cbranch_scc1 .LBB7_1172
; %bb.1171:
	s_clause 0x1
	s_load_dwordx4 s[8:11], s[2:3], 0x10
	s_load_dwordx2 s[0:1], s[2:3], 0xcc
	s_waitcnt lgkmcnt(0)
	v_mul_hi_u32 v1, s9, v3
	v_add_nc_u32_e32 v1, v3, v1
	v_lshrrev_b32_e32 v1, s10, v1
	v_mul_lo_u32 v1, v1, s8
	v_sub_nc_u32_e32 v1, v3, v1
	v_mad_u64_u32 v[10:11], null, v1, s0, v[10:11]
	v_mad_u64_u32 v[7:8], null, v1, s1, v[7:8]
.LBB7_1172:
	v_cmp_ne_u32_e32 vcc_lo, 1, v4
	s_cbranch_vccnz .LBB7_1178
; %bb.1173:
	s_cmp_lg_u32 s24, 0
	s_mov_b32 s8, 0
	s_cbranch_scc0 .LBB7_1179
; %bb.1174:
	s_min_u32 s10, s25, 15
	s_add_i32 s10, s10, 1
	s_cmp_eq_u32 s25, 2
	s_cbranch_scc1 .LBB7_1180
; %bb.1175:
	v_mov_b32_e32 v3, 0
	v_mov_b32_e32 v14, 0
	;; [unrolled: 1-line block ×3, first 2 shown]
	s_and_b32 s9, s10, 28
	s_add_u32 s0, s2, 0xc4
	s_addc_u32 s1, s3, 0
	s_mov_b32 s11, 0
	s_mov_b64 s[6:7], s[2:3]
.LBB7_1176:                             ; =>This Inner Loop Header: Depth=1
	s_clause 0x1
	s_load_dwordx8 s[16:23], s[6:7], 0x4
	s_load_dwordx4 s[28:31], s[6:7], 0x24
	s_load_dwordx8 s[36:43], s[0:1], 0x0
	s_add_u32 s6, s6, 48
	s_addc_u32 s7, s7, 0
	s_add_i32 s11, s11, 4
	s_add_u32 s0, s0, 32
	s_addc_u32 s1, s1, 0
	s_cmp_lg_u32 s9, s11
	s_waitcnt lgkmcnt(0)
	v_mul_hi_u32 v4, s17, v1
	v_add_nc_u32_e32 v4, v1, v4
	v_lshrrev_b32_e32 v4, s18, v4
	v_mul_hi_u32 v8, s20, v4
	v_mul_lo_u32 v12, v4, s16
	v_add_nc_u32_e32 v8, v4, v8
	v_sub_nc_u32_e32 v1, v1, v12
	v_lshrrev_b32_e32 v8, s21, v8
	v_mul_lo_u32 v12, v1, s36
	v_mul_lo_u32 v15, v1, s37
	v_mul_hi_u32 v11, s23, v8
	v_add_nc_u32_e32 v11, v8, v11
	v_lshrrev_b32_e32 v11, s28, v11
	v_mul_hi_u32 v13, s30, v11
	v_mul_lo_u32 v16, v11, s22
	v_add_nc_u32_e32 v1, v11, v13
	v_mul_lo_u32 v13, v8, s19
	v_sub_nc_u32_e32 v8, v8, v16
	v_lshrrev_b32_e32 v1, s31, v1
	v_mul_lo_u32 v16, v8, s40
	v_mul_lo_u32 v8, v8, s41
	v_sub_nc_u32_e32 v4, v4, v13
	v_mul_lo_u32 v17, v1, s29
	v_mul_lo_u32 v13, v4, s38
	;; [unrolled: 1-line block ×3, first 2 shown]
	v_sub_nc_u32_e32 v11, v11, v17
	v_add3_u32 v12, v12, v14, v13
	v_mul_lo_u32 v17, v11, s42
	v_mul_lo_u32 v11, v11, s43
	v_add3_u32 v3, v15, v3, v4
	v_add3_u32 v14, v16, v12, v17
	;; [unrolled: 1-line block ×3, first 2 shown]
	s_cbranch_scc1 .LBB7_1176
; %bb.1177:
	s_and_b32 s10, s10, 3
	s_cmp_eq_u32 s10, 0
	s_cbranch_scc0 .LBB7_1181
	s_branch .LBB7_1183
.LBB7_1178:
	s_mov_b32 s8, -1
                                        ; implicit-def: $vgpr14
                                        ; implicit-def: $vgpr3
	s_branch .LBB7_1183
.LBB7_1179:
	v_mov_b32_e32 v14, 0
	v_mov_b32_e32 v3, 0
	s_branch .LBB7_1183
.LBB7_1180:
	v_mov_b32_e32 v14, 0
	v_mov_b32_e32 v3, 0
	;; [unrolled: 1-line block ×3, first 2 shown]
	s_mov_b32 s9, 0
	s_and_b32 s10, s10, 3
	s_cmp_eq_u32 s10, 0
	s_cbranch_scc1 .LBB7_1183
.LBB7_1181:
	s_lshl_b32 s0, s9, 3
	s_mul_i32 s6, s9, 12
	s_add_u32 s0, s2, s0
	s_addc_u32 s1, s3, 0
	s_add_u32 s0, s0, 0xc4
	s_addc_u32 s1, s1, 0
	s_add_u32 s6, s2, s6
	s_addc_u32 s7, s3, 0
	.p2align	6
.LBB7_1182:                             ; =>This Inner Loop Header: Depth=1
	s_clause 0x1
	s_load_dwordx2 s[14:15], s[6:7], 0x4
	s_load_dword s9, s[6:7], 0xc
	s_load_dwordx2 s[16:17], s[0:1], 0x0
	s_add_u32 s6, s6, 12
	s_addc_u32 s7, s7, 0
	s_add_u32 s0, s0, 8
	s_addc_u32 s1, s1, 0
	s_add_i32 s10, s10, -1
	s_cmp_lg_u32 s10, 0
	s_waitcnt lgkmcnt(0)
	v_mul_hi_u32 v4, s15, v1
	v_add_nc_u32_e32 v4, v1, v4
	v_lshrrev_b32_e32 v8, s9, v4
	v_mul_lo_u32 v4, v8, s14
	v_sub_nc_u32_e32 v1, v1, v4
	v_mad_u64_u32 v[14:15], null, v1, s16, v[14:15]
	v_mad_u64_u32 v[3:4], null, v1, s17, v[3:4]
	v_mov_b32_e32 v1, v8
	s_cbranch_scc1 .LBB7_1182
.LBB7_1183:
	s_andn2_b32 vcc_lo, exec_lo, s8
	s_cbranch_vccnz .LBB7_1186
; %bb.1184:
	s_clause 0x1
	s_load_dwordx4 s[8:11], s[2:3], 0x4
	s_load_dwordx2 s[0:1], s[2:3], 0xc4
	s_cmp_lt_u32 s24, 2
	s_waitcnt lgkmcnt(0)
	v_mul_hi_u32 v1, s9, v5
	v_add_nc_u32_e32 v1, v5, v1
	v_lshrrev_b32_e32 v1, s10, v1
	v_mul_lo_u32 v3, v1, s8
	v_sub_nc_u32_e32 v3, v5, v3
	v_mul_lo_u32 v14, v3, s0
	v_mul_lo_u32 v3, v3, s1
	s_cbranch_scc1 .LBB7_1186
; %bb.1185:
	s_clause 0x1
	s_load_dwordx4 s[8:11], s[2:3], 0x10
	s_load_dwordx2 s[0:1], s[2:3], 0xcc
	s_waitcnt lgkmcnt(0)
	v_mul_hi_u32 v4, s9, v1
	v_add_nc_u32_e32 v4, v1, v4
	v_lshrrev_b32_e32 v4, s10, v4
	v_mul_lo_u32 v4, v4, s8
	v_sub_nc_u32_e32 v1, v1, v4
	v_mad_u64_u32 v[14:15], null, v1, s0, v[14:15]
	v_mad_u64_u32 v[3:4], null, v1, s1, v[3:4]
.LBB7_1186:
	s_clause 0x1
	s_load_dwordx4 s[8:11], s[2:3], 0x148
	s_load_dword s2, s[4:5], 0x160
	s_waitcnt lgkmcnt(0)
	v_add_co_u32 v0, s0, s10, v0
	v_add_co_ci_u32_e64 v1, null, s11, 0, s0
	s_bfe_u32 s0, s2, 0x80010
	s_cmp_lt_i32 s0, 11
	s_cbranch_scc1 .LBB7_1193
; %bb.1187:
	s_and_b32 s1, 0xffff, s0
	s_mov_b32 s4, 0
	s_cmp_gt_i32 s1, 25
	s_cbranch_scc0 .LBB7_1195
; %bb.1188:
	s_cmp_gt_i32 s1, 28
	s_cbranch_scc0 .LBB7_1196
; %bb.1189:
	;; [unrolled: 3-line block ×4, first 2 shown]
	s_cmp_eq_u32 s1, 46
	s_mov_b32 s6, 0
	s_cbranch_scc0 .LBB7_1201
; %bb.1192:
	global_load_dword v4, v[0:1], off
	s_mov_b32 s3, 0
	s_mov_b32 s5, -1
	s_waitcnt vmcnt(0)
	v_lshlrev_b32_e32 v4, 16, v4
	v_cvt_f64_f32_e32 v[4:5], v4
	s_branch .LBB7_1203
.LBB7_1193:
	s_mov_b32 s5, 0
	s_mov_b32 s1, s12
                                        ; implicit-def: $vgpr4_vgpr5
	s_cbranch_execnz .LBB7_1266
.LBB7_1194:
	s_andn2_b32 vcc_lo, exec_lo, s5
	s_cbranch_vccz .LBB7_1311
	s_branch .LBB7_1820
.LBB7_1195:
	s_mov_b32 s5, 0
	s_mov_b32 s3, 0
                                        ; implicit-def: $vgpr4_vgpr5
	s_cbranch_execnz .LBB7_1233
	s_branch .LBB7_1262
.LBB7_1196:
	s_mov_b32 s6, -1
	s_mov_b32 s5, 0
	s_mov_b32 s3, 0
                                        ; implicit-def: $vgpr4_vgpr5
	s_branch .LBB7_1212
.LBB7_1197:
	s_mov_b32 s5, 0
	s_mov_b32 s3, 0
                                        ; implicit-def: $vgpr4_vgpr5
	s_cbranch_execnz .LBB7_1208
	s_branch .LBB7_1211
.LBB7_1198:
	s_mov_b32 s6, -1
	s_mov_b32 s5, 0
	s_mov_b32 s3, 0
	s_branch .LBB7_1202
.LBB7_1199:
	s_andn2_saveexec_b32 s11, s11
	s_cbranch_execz .LBB7_1042
.LBB7_1200:
	v_add_f32_e64 v3, 0x46000000, |v2|
	s_andn2_b32 s10, s10, exec_lo
	v_and_b32_e32 v3, 0xff, v3
	v_cmp_ne_u32_e32 vcc_lo, 0, v3
	s_and_b32 s12, vcc_lo, exec_lo
	s_or_b32 s10, s10, s12
	s_or_b32 exec_lo, exec_lo, s11
	v_mov_b32_e32 v4, 0
	s_and_saveexec_b32 s11, s10
	s_cbranch_execnz .LBB7_1043
	s_branch .LBB7_1044
.LBB7_1201:
	s_mov_b32 s3, -1
	s_mov_b32 s5, 0
.LBB7_1202:
                                        ; implicit-def: $vgpr4_vgpr5
.LBB7_1203:
	s_and_b32 vcc_lo, exec_lo, s6
	s_cbranch_vccz .LBB7_1206
; %bb.1204:
	s_cmp_eq_u32 s1, 44
	s_cbranch_scc0 .LBB7_1207
; %bb.1205:
	global_load_ubyte v8, v[0:1], off
	s_mov_b32 s3, 0
	s_mov_b32 s5, -1
	s_waitcnt vmcnt(0)
	v_lshlrev_b32_e32 v4, 23, v8
	v_cmp_ne_u32_e32 vcc_lo, 0xff, v8
	v_cvt_f64_f32_e32 v[4:5], v4
	v_cndmask_b32_e32 v4, 0x20000000, v4, vcc_lo
	v_cndmask_b32_e32 v5, 0x7ff80000, v5, vcc_lo
	v_cmp_ne_u32_e32 vcc_lo, 0, v8
	v_cndmask_b32_e32 v5, 0x38000000, v5, vcc_lo
	v_cndmask_b32_e32 v4, 0, v4, vcc_lo
.LBB7_1206:
	s_branch .LBB7_1211
.LBB7_1207:
	s_mov_b32 s3, -1
                                        ; implicit-def: $vgpr4_vgpr5
	s_branch .LBB7_1211
.LBB7_1208:
	s_cmp_eq_u32 s1, 29
	s_cbranch_scc0 .LBB7_1210
; %bb.1209:
	global_load_dwordx2 v[4:5], v[0:1], off
	s_mov_b32 s3, 0
	s_mov_b32 s5, -1
	s_mov_b32 s6, 0
	s_waitcnt vmcnt(0)
	v_cvt_f64_u32_e32 v[11:12], v5
	v_cvt_f64_u32_e32 v[4:5], v4
	v_ldexp_f64 v[11:12], v[11:12], 32
	v_add_f64 v[4:5], v[11:12], v[4:5]
	s_branch .LBB7_1212
.LBB7_1210:
	s_mov_b32 s3, -1
                                        ; implicit-def: $vgpr4_vgpr5
.LBB7_1211:
	s_mov_b32 s6, 0
.LBB7_1212:
	s_and_b32 vcc_lo, exec_lo, s6
	s_cbranch_vccz .LBB7_1232
; %bb.1213:
	s_cmp_lt_i32 s1, 27
	s_cbranch_scc1 .LBB7_1216
; %bb.1214:
	s_cmp_gt_i32 s1, 27
	s_cbranch_scc0 .LBB7_1217
; %bb.1215:
	global_load_dword v4, v[0:1], off
	s_mov_b32 s5, 0
	s_waitcnt vmcnt(0)
	v_cvt_f64_u32_e32 v[4:5], v4
	s_branch .LBB7_1218
.LBB7_1216:
	s_mov_b32 s5, -1
                                        ; implicit-def: $vgpr4_vgpr5
	s_branch .LBB7_1221
.LBB7_1217:
	s_mov_b32 s5, -1
                                        ; implicit-def: $vgpr4_vgpr5
.LBB7_1218:
	s_andn2_b32 vcc_lo, exec_lo, s5
	s_cbranch_vccnz .LBB7_1220
; %bb.1219:
	global_load_ushort v4, v[0:1], off
	s_waitcnt vmcnt(0)
	v_cvt_f64_u32_e32 v[4:5], v4
.LBB7_1220:
	s_mov_b32 s5, 0
.LBB7_1221:
	s_andn2_b32 vcc_lo, exec_lo, s5
	s_cbranch_vccnz .LBB7_1231
; %bb.1222:
	global_load_ubyte v8, v[0:1], off
	s_mov_b32 s5, 0
	s_mov_b32 s6, exec_lo
	s_waitcnt vmcnt(0)
	v_cmpx_lt_i16_e32 0x7f, v8
	s_xor_b32 s6, exec_lo, s6
	s_cbranch_execz .LBB7_1226
; %bb.1223:
	s_mov_b32 s5, -1
	s_mov_b32 s7, exec_lo
	v_cmpx_eq_u16_e32 0x80, v8
; %bb.1224:
	s_xor_b32 s5, exec_lo, -1
; %bb.1225:
	s_or_b32 exec_lo, exec_lo, s7
	s_and_b32 s5, s5, exec_lo
.LBB7_1226:
	s_or_saveexec_b32 s6, s6
	v_bfrev_b32_e32 v4, 4
	v_mov_b32_e32 v5, 0x7ff80000
	s_xor_b32 exec_lo, exec_lo, s6
; %bb.1227:
	v_cmp_ne_u16_e32 vcc_lo, 0, v8
	v_mov_b32_e32 v4, 0
	v_mov_b32_e32 v5, 0
	s_andn2_b32 s5, s5, exec_lo
	s_and_b32 s7, vcc_lo, exec_lo
	s_or_b32 s5, s5, s7
; %bb.1228:
	s_or_b32 exec_lo, exec_lo, s6
	s_and_saveexec_b32 s6, s5
	s_cbranch_execz .LBB7_1230
; %bb.1229:
	v_and_b32_e32 v4, 0xffff, v8
	v_lshlrev_b32_e32 v8, 24, v8
	v_and_b32_e32 v5, 7, v4
	v_bfe_u32 v13, v4, 3, 4
	v_ffbh_u32_e32 v11, v5
	v_cmp_eq_u32_e32 vcc_lo, 0, v13
	v_min_u32_e32 v11, 32, v11
	v_subrev_nc_u32_e32 v12, 28, v11
	v_sub_nc_u32_e32 v11, 29, v11
	v_lshlrev_b32_e32 v4, v12, v4
	v_cndmask_b32_e32 v11, v13, v11, vcc_lo
	v_and_b32_e32 v4, 7, v4
	v_cndmask_b32_e32 v4, v5, v4, vcc_lo
	v_and_b32_e32 v5, 0x80000000, v8
	v_lshl_add_u32 v8, v11, 23, 0x3b800000
	v_lshlrev_b32_e32 v4, 20, v4
	v_or3_b32 v4, v5, v8, v4
	v_cvt_f64_f32_e32 v[4:5], v4
.LBB7_1230:
	s_or_b32 exec_lo, exec_lo, s6
.LBB7_1231:
	s_mov_b32 s5, -1
.LBB7_1232:
	s_branch .LBB7_1262
.LBB7_1233:
	s_cmp_gt_i32 s1, 22
	s_cbranch_scc0 .LBB7_1245
; %bb.1234:
	s_cmp_lt_i32 s1, 24
	s_cbranch_scc1 .LBB7_1246
; %bb.1235:
	s_cmp_gt_i32 s1, 24
	s_cbranch_scc0 .LBB7_1247
; %bb.1236:
	global_load_ubyte v8, v[0:1], off
	s_mov_b32 s5, exec_lo
	s_waitcnt vmcnt(0)
	v_cmpx_lt_i16_e32 0x7f, v8
	s_xor_b32 s5, exec_lo, s5
	s_cbranch_execz .LBB7_1240
; %bb.1237:
	s_mov_b32 s4, -1
	s_mov_b32 s6, exec_lo
	v_cmpx_eq_u16_e32 0x80, v8
; %bb.1238:
	s_xor_b32 s4, exec_lo, -1
; %bb.1239:
	s_or_b32 exec_lo, exec_lo, s6
	s_and_b32 s4, s4, exec_lo
.LBB7_1240:
	s_or_saveexec_b32 s5, s5
	v_bfrev_b32_e32 v4, 4
	v_mov_b32_e32 v5, 0x7ff80000
	s_xor_b32 exec_lo, exec_lo, s5
; %bb.1241:
	v_cmp_ne_u16_e32 vcc_lo, 0, v8
	v_mov_b32_e32 v4, 0
	v_mov_b32_e32 v5, 0
	s_andn2_b32 s4, s4, exec_lo
	s_and_b32 s6, vcc_lo, exec_lo
	s_or_b32 s4, s4, s6
; %bb.1242:
	s_or_b32 exec_lo, exec_lo, s5
	s_and_saveexec_b32 s5, s4
	s_cbranch_execz .LBB7_1244
; %bb.1243:
	v_and_b32_e32 v4, 0xffff, v8
	v_lshlrev_b32_e32 v8, 24, v8
	v_and_b32_e32 v5, 3, v4
	v_bfe_u32 v13, v4, 2, 5
	v_ffbh_u32_e32 v11, v5
	v_cmp_eq_u32_e32 vcc_lo, 0, v13
	v_min_u32_e32 v11, 32, v11
	v_subrev_nc_u32_e32 v12, 29, v11
	v_sub_nc_u32_e32 v11, 30, v11
	v_lshlrev_b32_e32 v4, v12, v4
	v_cndmask_b32_e32 v11, v13, v11, vcc_lo
	v_and_b32_e32 v4, 3, v4
	v_cndmask_b32_e32 v4, v5, v4, vcc_lo
	v_and_b32_e32 v5, 0x80000000, v8
	v_lshl_add_u32 v8, v11, 23, 0x37800000
	v_lshlrev_b32_e32 v4, 21, v4
	v_or3_b32 v4, v5, v8, v4
	v_cvt_f64_f32_e32 v[4:5], v4
.LBB7_1244:
	s_or_b32 exec_lo, exec_lo, s5
	s_mov_b32 s4, 0
	s_branch .LBB7_1248
.LBB7_1245:
                                        ; implicit-def: $vgpr4_vgpr5
	s_mov_b32 s4, 0
	s_branch .LBB7_1254
.LBB7_1246:
	s_mov_b32 s4, -1
                                        ; implicit-def: $vgpr4_vgpr5
	s_branch .LBB7_1251
.LBB7_1247:
	s_mov_b32 s4, -1
                                        ; implicit-def: $vgpr4_vgpr5
.LBB7_1248:
	s_and_b32 vcc_lo, exec_lo, s4
	s_cbranch_vccz .LBB7_1250
; %bb.1249:
	global_load_ubyte v4, v[0:1], off
	s_waitcnt vmcnt(0)
	v_lshlrev_b32_e32 v4, 24, v4
	v_and_b32_e32 v5, 0x7f000000, v4
	v_ffbh_u32_e32 v8, v5
	v_add_nc_u32_e32 v12, 0x1000000, v5
	v_cmp_ne_u32_e32 vcc_lo, 0, v5
	v_min_u32_e32 v8, 32, v8
	v_sub_nc_u32_e64 v8, v8, 4 clamp
	v_lshlrev_b32_e32 v11, v8, v5
	v_lshlrev_b32_e32 v8, 23, v8
	v_lshrrev_b32_e32 v11, 4, v11
	v_sub_nc_u32_e32 v8, v11, v8
	v_ashrrev_i32_e32 v11, 8, v12
	v_add_nc_u32_e32 v8, 0x3c000000, v8
	v_and_or_b32 v8, 0x7f800000, v11, v8
	v_cndmask_b32_e32 v5, 0, v8, vcc_lo
	v_and_or_b32 v4, 0x80000000, v4, v5
	v_cvt_f64_f32_e32 v[4:5], v4
.LBB7_1250:
	s_mov_b32 s4, 0
.LBB7_1251:
	s_andn2_b32 vcc_lo, exec_lo, s4
	s_cbranch_vccnz .LBB7_1253
; %bb.1252:
	global_load_ubyte v4, v[0:1], off
	s_waitcnt vmcnt(0)
	v_lshlrev_b32_e32 v5, 25, v4
	v_lshlrev_b16 v4, 8, v4
	v_lshrrev_b32_e32 v8, 4, v5
	v_and_or_b32 v11, 0x7f00, v4, 0.5
	v_cmp_gt_u32_e32 vcc_lo, 0x8000000, v5
	v_bfe_i32 v4, v4, 0, 16
	v_or_b32_e32 v8, 0x70000000, v8
	v_add_f32_e32 v11, -0.5, v11
	v_mul_f32_e32 v8, 0x7800000, v8
	v_cndmask_b32_e32 v5, v8, v11, vcc_lo
	v_and_or_b32 v4, 0x80000000, v4, v5
	v_cvt_f64_f32_e32 v[4:5], v4
.LBB7_1253:
	s_mov_b32 s5, -1
	s_mov_b32 s4, 0
	s_cbranch_execnz .LBB7_1262
.LBB7_1254:
	s_cmp_gt_i32 s1, 14
	s_cbranch_scc0 .LBB7_1257
; %bb.1255:
	s_cmp_eq_u32 s1, 15
	s_cbranch_scc0 .LBB7_1258
; %bb.1256:
	global_load_ushort v4, v[0:1], off
	s_mov_b32 s3, 0
	s_mov_b32 s5, -1
	s_waitcnt vmcnt(0)
	v_lshlrev_b32_e32 v4, 16, v4
	v_cvt_f64_f32_e32 v[4:5], v4
	s_branch .LBB7_1260
.LBB7_1257:
	s_mov_b32 s4, -1
	s_branch .LBB7_1259
.LBB7_1258:
	s_mov_b32 s3, -1
.LBB7_1259:
                                        ; implicit-def: $vgpr4_vgpr5
.LBB7_1260:
	s_and_b32 vcc_lo, exec_lo, s4
	s_mov_b32 s4, 0
	s_cbranch_vccz .LBB7_1262
; %bb.1261:
	s_cmp_lg_u32 s1, 11
	s_mov_b32 s4, -1
	s_cselect_b32 s3, -1, 0
.LBB7_1262:
	s_and_b32 vcc_lo, exec_lo, s3
	s_mov_b32 s1, s12
	s_cbranch_vccnz .LBB7_1333
; %bb.1263:
	s_andn2_b32 vcc_lo, exec_lo, s4
	s_cbranch_vccnz .LBB7_1265
.LBB7_1264:
	global_load_ubyte v4, v[0:1], off
	s_mov_b32 s5, -1
	s_waitcnt vmcnt(0)
	v_cmp_ne_u16_e32 vcc_lo, 0, v4
	v_mov_b32_e32 v4, 0
	v_cndmask_b32_e64 v5, 0, 0x3ff00000, vcc_lo
.LBB7_1265:
	s_branch .LBB7_1194
.LBB7_1266:
	s_and_b32 s0, 0xffff, s0
	s_cmp_lt_i32 s0, 5
	s_cbranch_scc1 .LBB7_1271
; %bb.1267:
	s_cmp_lt_i32 s0, 8
	s_cbranch_scc1 .LBB7_1272
; %bb.1268:
	;; [unrolled: 3-line block ×3, first 2 shown]
	s_cmp_gt_i32 s0, 9
	s_cbranch_scc0 .LBB7_1274
; %bb.1270:
	global_load_dwordx2 v[4:5], v[0:1], off
	s_mov_b32 s3, 0
	s_branch .LBB7_1275
.LBB7_1271:
                                        ; implicit-def: $vgpr4_vgpr5
	s_branch .LBB7_1292
.LBB7_1272:
                                        ; implicit-def: $vgpr4_vgpr5
	s_branch .LBB7_1281
.LBB7_1273:
	s_mov_b32 s3, -1
                                        ; implicit-def: $vgpr4_vgpr5
	s_branch .LBB7_1278
.LBB7_1274:
	s_mov_b32 s3, -1
                                        ; implicit-def: $vgpr4_vgpr5
.LBB7_1275:
	s_andn2_b32 vcc_lo, exec_lo, s3
	s_cbranch_vccnz .LBB7_1277
; %bb.1276:
	global_load_dword v4, v[0:1], off
	s_waitcnt vmcnt(0)
	v_cvt_f64_f32_e32 v[4:5], v4
.LBB7_1277:
	s_mov_b32 s3, 0
.LBB7_1278:
	s_andn2_b32 vcc_lo, exec_lo, s3
	s_cbranch_vccnz .LBB7_1280
; %bb.1279:
	global_load_dword v4, v[0:1], off
	s_waitcnt vmcnt(0)
	v_cvt_f32_f16_e32 v4, v4
	v_cvt_f64_f32_e32 v[4:5], v4
.LBB7_1280:
	s_cbranch_execnz .LBB7_1291
.LBB7_1281:
	s_cmp_lt_i32 s0, 6
	s_cbranch_scc1 .LBB7_1284
; %bb.1282:
	s_cmp_gt_i32 s0, 6
	s_cbranch_scc0 .LBB7_1285
; %bb.1283:
	global_load_dwordx2 v[4:5], v[0:1], off
	s_mov_b32 s3, 0
	s_branch .LBB7_1286
.LBB7_1284:
	s_mov_b32 s3, -1
                                        ; implicit-def: $vgpr4_vgpr5
	s_branch .LBB7_1289
.LBB7_1285:
	s_mov_b32 s3, -1
                                        ; implicit-def: $vgpr4_vgpr5
.LBB7_1286:
	s_andn2_b32 vcc_lo, exec_lo, s3
	s_cbranch_vccnz .LBB7_1288
; %bb.1287:
	global_load_dword v4, v[0:1], off
	s_waitcnt vmcnt(0)
	v_cvt_f64_f32_e32 v[4:5], v4
.LBB7_1288:
	s_mov_b32 s3, 0
.LBB7_1289:
	s_andn2_b32 vcc_lo, exec_lo, s3
	s_cbranch_vccnz .LBB7_1291
; %bb.1290:
	global_load_ushort v4, v[0:1], off
	s_waitcnt vmcnt(0)
	v_cvt_f32_f16_e32 v4, v4
	v_cvt_f64_f32_e32 v[4:5], v4
.LBB7_1291:
	s_cbranch_execnz .LBB7_1310
.LBB7_1292:
	s_cmp_lt_i32 s0, 2
	s_cbranch_scc1 .LBB7_1296
; %bb.1293:
	s_cmp_lt_i32 s0, 3
	s_cbranch_scc1 .LBB7_1297
; %bb.1294:
	s_cmp_gt_i32 s0, 3
	s_cbranch_scc0 .LBB7_1298
; %bb.1295:
	global_load_dwordx2 v[4:5], v[0:1], off
	s_mov_b32 s3, 0
	s_waitcnt vmcnt(0)
	v_cvt_f64_i32_e32 v[11:12], v5
	v_cvt_f64_u32_e32 v[4:5], v4
	v_ldexp_f64 v[11:12], v[11:12], 32
	v_add_f64 v[4:5], v[11:12], v[4:5]
	s_branch .LBB7_1299
.LBB7_1296:
                                        ; implicit-def: $vgpr4_vgpr5
	s_branch .LBB7_1305
.LBB7_1297:
	s_mov_b32 s3, -1
                                        ; implicit-def: $vgpr4_vgpr5
	s_branch .LBB7_1302
.LBB7_1298:
	s_mov_b32 s3, -1
                                        ; implicit-def: $vgpr4_vgpr5
.LBB7_1299:
	s_andn2_b32 vcc_lo, exec_lo, s3
	s_cbranch_vccnz .LBB7_1301
; %bb.1300:
	global_load_dword v4, v[0:1], off
	s_waitcnt vmcnt(0)
	v_cvt_f64_i32_e32 v[4:5], v4
.LBB7_1301:
	s_mov_b32 s3, 0
.LBB7_1302:
	s_andn2_b32 vcc_lo, exec_lo, s3
	s_cbranch_vccnz .LBB7_1304
; %bb.1303:
	global_load_sshort v4, v[0:1], off
	s_waitcnt vmcnt(0)
	v_cvt_f64_i32_e32 v[4:5], v4
.LBB7_1304:
	s_cbranch_execnz .LBB7_1310
.LBB7_1305:
	s_cmp_gt_i32 s0, 0
	s_mov_b32 s0, 0
	s_cbranch_scc0 .LBB7_1307
; %bb.1306:
	global_load_sbyte v4, v[0:1], off
	s_waitcnt vmcnt(0)
	v_cvt_f64_i32_e32 v[4:5], v4
	s_branch .LBB7_1308
.LBB7_1307:
	s_mov_b32 s0, -1
                                        ; implicit-def: $vgpr4_vgpr5
.LBB7_1308:
	s_andn2_b32 vcc_lo, exec_lo, s0
	s_cbranch_vccnz .LBB7_1310
; %bb.1309:
	global_load_ubyte v0, v[0:1], off
	s_waitcnt vmcnt(0)
	v_cvt_f64_u32_e32 v[4:5], v0
.LBB7_1310:
.LBB7_1311:
	v_mov_b32_e32 v0, 0
	v_mov_b32_e32 v1, 0
	s_mov_b32 s3, exec_lo
	s_waitcnt vmcnt(0)
	v_cmpx_neq_f64_e64 0x7ff00000, |v[4:5]|
	s_cbranch_execz .LBB7_1321
; %bb.1312:
	s_mov_b32 s4, exec_lo
                                        ; implicit-def: $vgpr0_vgpr1
	v_cmpx_nlt_f64_e64 |v[4:5]|, 0.5
	s_xor_b32 s4, exec_lo, s4
	s_cbranch_execz .LBB7_1318
; %bb.1313:
	v_cmp_ngt_f64_e64 s0, 0x41d00000, |v[4:5]|
                                        ; implicit-def: $vgpr8
                                        ; implicit-def: $vgpr0_vgpr1
                                        ; implicit-def: $vgpr11_vgpr12
	s_and_saveexec_b32 s5, s0
	s_xor_b32 s0, exec_lo, s5
	s_cbranch_execz .LBB7_1315
; %bb.1314:
	v_ldexp_f64 v[0:1], |v[4:5]|, 0xffffff80
	v_cmp_le_f64_e64 vcc_lo, 0x7b000000, |v[4:5]|
	v_trig_preop_f64 v[11:12], |v[4:5]|, 0
	v_and_b32_e32 v8, 0x7fffffff, v5
	v_trig_preop_f64 v[15:16], |v[4:5]|, 1
	v_trig_preop_f64 v[25:26], |v[4:5]|, 2
	v_mov_b32_e32 v33, 0
	s_mov_b32 s6, 0x54442d18
	s_mov_b32 s7, 0x3ff921fb
	;; [unrolled: 1-line block ×4, first 2 shown]
	v_cndmask_b32_e32 v1, v8, v1, vcc_lo
	v_cndmask_b32_e32 v0, v4, v0, vcc_lo
	v_mul_f64 v[17:18], v[11:12], v[0:1]
	v_mul_f64 v[19:20], v[15:16], v[0:1]
	;; [unrolled: 1-line block ×3, first 2 shown]
	v_fma_f64 v[11:12], v[11:12], v[0:1], -v[17:18]
	v_fma_f64 v[15:16], v[15:16], v[0:1], -v[19:20]
	;; [unrolled: 1-line block ×3, first 2 shown]
	v_add_f64 v[21:22], v[19:20], v[11:12]
	v_add_f64 v[23:24], v[21:22], -v[19:20]
	v_add_f64 v[29:30], v[17:18], v[21:22]
	v_add_f64 v[27:28], v[21:22], -v[23:24]
	v_add_f64 v[11:12], v[11:12], -v[23:24]
	v_ldexp_f64 v[23:24], v[29:30], -2
	v_add_f64 v[17:18], v[29:30], -v[17:18]
	v_add_f64 v[19:20], v[19:20], -v[27:28]
	v_add_f64 v[27:28], v[31:32], v[15:16]
	v_cmp_neq_f64_e64 vcc_lo, 0x7ff00000, |v[23:24]|
	v_add_f64 v[17:18], v[21:22], -v[17:18]
	v_add_f64 v[11:12], v[11:12], v[19:20]
	v_fract_f64_e32 v[19:20], v[23:24]
	v_add_f64 v[21:22], v[27:28], v[11:12]
	v_ldexp_f64 v[19:20], v[19:20], 2
	v_add_f64 v[23:24], v[17:18], v[21:22]
	v_cndmask_b32_e32 v20, 0, v20, vcc_lo
	v_cndmask_b32_e32 v19, 0, v19, vcc_lo
	v_add_f64 v[29:30], v[23:24], v[19:20]
	v_add_f64 v[17:18], v[23:24], -v[17:18]
	v_cmp_gt_f64_e32 vcc_lo, 0, v[29:30]
	v_add_f64 v[29:30], v[27:28], -v[31:32]
	v_add_f64 v[17:18], v[21:22], -v[17:18]
	v_cndmask_b32_e64 v34, 0, 0x40100000, vcc_lo
	v_add_f64 v[38:39], v[27:28], -v[29:30]
	v_add_f64 v[15:16], v[15:16], -v[29:30]
	v_add_f64 v[19:20], v[19:20], v[33:34]
	v_add_f64 v[34:35], v[21:22], -v[27:28]
	v_add_f64 v[29:30], v[31:32], -v[38:39]
	v_add_f64 v[36:37], v[23:24], v[19:20]
	;; [unrolled: 3-line block ×3, first 2 shown]
	v_cvt_i32_f64_e32 v8, v[36:37]
	v_add_f64 v[27:28], v[27:28], -v[40:41]
	v_cvt_f64_i32_e32 v[34:35], v8
	v_add_f64 v[11:12], v[11:12], v[27:28]
	v_add_f64 v[19:20], v[19:20], -v[34:35]
	v_add_f64 v[11:12], v[15:16], v[11:12]
	v_add_f64 v[15:16], v[23:24], v[19:20]
	v_add_f64 v[0:1], v[0:1], v[11:12]
	v_add_f64 v[11:12], v[15:16], -v[19:20]
	v_cmp_le_f64_e32 vcc_lo, 0.5, v[15:16]
	v_add_f64 v[0:1], v[17:18], v[0:1]
	v_add_f64 v[11:12], v[23:24], -v[11:12]
	v_cndmask_b32_e64 v34, 0, 0x3ff00000, vcc_lo
	v_add_co_ci_u32_e64 v8, null, 0, v8, vcc_lo
	v_add_f64 v[0:1], v[0:1], v[11:12]
	v_add_f64 v[11:12], v[15:16], -v[33:34]
	v_add_f64 v[15:16], v[11:12], v[0:1]
	v_mul_f64 v[17:18], v[15:16], s[6:7]
	v_add_f64 v[11:12], v[15:16], -v[11:12]
	v_fma_f64 v[19:20], v[15:16], s[6:7], -v[17:18]
	v_add_f64 v[0:1], v[0:1], -v[11:12]
	v_fma_f64 v[11:12], v[15:16], s[14:15], v[19:20]
	v_fma_f64 v[11:12], v[0:1], s[6:7], v[11:12]
	v_add_f64 v[0:1], v[17:18], v[11:12]
	v_add_f64 v[15:16], v[0:1], -v[17:18]
	v_add_f64 v[11:12], v[11:12], -v[15:16]
.LBB7_1315:
	s_andn2_saveexec_b32 s0, s0
	s_cbranch_execz .LBB7_1317
; %bb.1316:
	s_mov_b32 s6, 0x6dc9c883
	s_mov_b32 s7, 0x3fe45f30
	;; [unrolled: 1-line block ×3, first 2 shown]
	v_mul_f64 v[0:1], |v[4:5]|, s[6:7]
	s_mov_b32 s6, 0x54442d18
	s_mov_b32 s7, 0xbff921fb
	;; [unrolled: 1-line block ×3, first 2 shown]
	v_rndne_f64_e32 v[15:16], v[0:1]
	v_fma_f64 v[0:1], v[15:16], s[6:7], |v[4:5]|
	v_mul_f64 v[11:12], v[15:16], s[14:15]
	s_mov_b32 s6, 0x252049c0
	s_mov_b32 s7, 0xb97b839a
	v_cvt_i32_f64_e32 v8, v[15:16]
	v_fma_f64 v[19:20], v[15:16], s[14:15], v[0:1]
	v_add_f64 v[17:18], v[0:1], v[11:12]
	s_mov_b32 s15, 0x3c91a626
	v_add_f64 v[0:1], v[0:1], -v[17:18]
	v_add_f64 v[17:18], v[17:18], -v[19:20]
	v_add_f64 v[0:1], v[0:1], v[11:12]
	v_fma_f64 v[11:12], v[15:16], s[14:15], v[11:12]
	v_add_f64 v[0:1], v[17:18], v[0:1]
	v_add_f64 v[0:1], v[0:1], -v[11:12]
	v_fma_f64 v[11:12], v[15:16], s[6:7], v[0:1]
	v_add_f64 v[0:1], v[19:20], v[11:12]
	v_add_f64 v[17:18], v[0:1], -v[19:20]
	v_add_f64 v[11:12], v[11:12], -v[17:18]
.LBB7_1317:
	s_or_b32 exec_lo, exec_lo, s0
	v_mul_f64 v[15:16], v[0:1], v[0:1]
	s_mov_b32 s6, 0xb42fdfa7
	s_mov_b32 s14, 0xf9a43bb8
	;; [unrolled: 1-line block ×6, first 2 shown]
	v_mul_f64 v[25:26], v[11:12], 0.5
	v_cmp_class_f64_e64 s0, v[4:5], 0x1f8
	v_fma_f64 v[17:18], v[15:16], s[14:15], s[6:7]
	s_mov_b32 s6, 0x9037ab78
	s_mov_b32 s14, 0x46cc5e42
	;; [unrolled: 1-line block ×4, first 2 shown]
	v_mul_f64 v[21:22], v[15:16], 0.5
	v_fma_f64 v[19:20], v[15:16], s[14:15], s[6:7]
	s_mov_b32 s6, 0xa17f65f6
	s_mov_b32 s14, 0x19e83e5c
	;; [unrolled: 1-line block ×4, first 2 shown]
	v_mul_f64 v[27:28], v[0:1], -v[15:16]
	v_fma_f64 v[17:18], v[15:16], v[17:18], s[16:17]
	v_add_f64 v[23:24], -v[21:22], 1.0
	v_fma_f64 v[19:20], v[15:16], v[19:20], s[6:7]
	s_mov_b32 s6, 0x19f4ec90
	s_mov_b32 s7, 0x3efa01a0
	v_fma_f64 v[17:18], v[15:16], v[17:18], s[14:15]
	s_mov_b32 s14, 0x11110bb3
	s_mov_b32 s15, 0x3f811111
	v_add_f64 v[29:30], -v[23:24], 1.0
	v_fma_f64 v[19:20], v[15:16], v[19:20], s[6:7]
	s_mov_b32 s6, 0x16c16967
	s_mov_b32 s7, 0xbf56c16c
	v_fma_f64 v[17:18], v[15:16], v[17:18], s[14:15]
	v_add_f64 v[21:22], v[29:30], -v[21:22]
	v_fma_f64 v[19:20], v[15:16], v[19:20], s[6:7]
	s_mov_b32 s7, 0x3fa55555
	s_mov_b32 s6, 0x55555555
	v_fma_f64 v[17:18], v[27:28], v[17:18], v[25:26]
	v_mul_f64 v[25:26], v[15:16], v[15:16]
	v_fma_f64 v[21:22], v[0:1], -v[11:12], v[21:22]
	v_fma_f64 v[19:20], v[15:16], v[19:20], s[6:7]
	s_mov_b32 s7, 0xbfc55555
	v_fma_f64 v[11:12], v[15:16], v[17:18], -v[11:12]
	v_fma_f64 v[15:16], v[25:26], v[19:20], v[21:22]
	v_fma_f64 v[11:12], v[27:28], s[6:7], v[11:12]
	v_add_f64 v[15:16], v[23:24], v[15:16]
	v_add_f64 v[0:1], v[0:1], -v[11:12]
	v_and_b32_e32 v11, 1, v8
	v_lshlrev_b32_e32 v8, 30, v8
	v_cmp_eq_u32_e32 vcc_lo, 0, v11
	v_xor_b32_e32 v8, v8, v5
	v_and_b32_e32 v8, 0x80000000, v8
	v_cndmask_b32_e32 v1, v16, v1, vcc_lo
	v_cndmask_b32_e32 v0, v15, v0, vcc_lo
	v_xor_b32_e32 v1, v1, v8
	v_cndmask_b32_e64 v0, 0, v0, s0
	v_cndmask_b32_e64 v1, 0x7ff80000, v1, s0
	v_div_scale_f64 v[11:12], null, v[4:5], v[4:5], v[0:1]
	v_rcp_f64_e32 v[15:16], v[11:12]
	v_fma_f64 v[17:18], -v[11:12], v[15:16], 1.0
	v_fma_f64 v[15:16], v[15:16], v[17:18], v[15:16]
	v_fma_f64 v[17:18], -v[11:12], v[15:16], 1.0
	v_fma_f64 v[15:16], v[15:16], v[17:18], v[15:16]
	v_div_scale_f64 v[17:18], vcc_lo, v[0:1], v[4:5], v[0:1]
	v_mul_f64 v[19:20], v[17:18], v[15:16]
	v_fma_f64 v[11:12], -v[11:12], v[19:20], v[17:18]
	v_div_fmas_f64 v[11:12], v[11:12], v[15:16], v[19:20]
	v_div_fixup_f64 v[0:1], v[11:12], v[4:5], v[0:1]
                                        ; implicit-def: $vgpr4_vgpr5
.LBB7_1318:
	s_andn2_saveexec_b32 s0, s4
	s_cbranch_execz .LBB7_1320
; %bb.1319:
	v_mul_f64 v[0:1], v[4:5], v[4:5]
	s_mov_b32 s4, 0x67f544e4
	s_mov_b32 s6, 0x13a86d09
	;; [unrolled: 1-line block ×4, first 2 shown]
	v_fma_f64 v[4:5], v[0:1], s[6:7], s[4:5]
	s_mov_b32 s4, 0xa556c734
	s_mov_b32 s5, 0x3ec71de3
	v_fma_f64 v[4:5], v[0:1], v[4:5], s[4:5]
	s_mov_b32 s4, 0x1a01a01a
	s_mov_b32 s5, 0xbf2a01a0
	;; [unrolled: 3-line block ×4, first 2 shown]
	v_fma_f64 v[4:5], v[0:1], v[4:5], s[4:5]
	v_fma_f64 v[0:1], v[0:1], v[4:5], 1.0
.LBB7_1320:
	s_or_b32 exec_lo, exec_lo, s0
.LBB7_1321:
	s_or_b32 exec_lo, exec_lo, s3
	v_add_co_u32 v4, s3, s10, v9
	s_lshr_b32 s0, s2, 16
	v_add_co_ci_u32_e64 v5, null, s11, 0, s3
	s_and_b32 s3, s0, 0xff
	s_cmp_lt_i32 s3, 11
	s_cbranch_scc1 .LBB7_1328
; %bb.1322:
	s_and_b32 s0, 0xffff, s3
	s_mov_b32 s5, 0
	s_cmp_gt_i32 s0, 25
	s_cbranch_scc0 .LBB7_1330
; %bb.1323:
	s_cmp_gt_i32 s0, 28
	s_cbranch_scc0 .LBB7_1331
; %bb.1324:
	;; [unrolled: 3-line block ×4, first 2 shown]
	s_cmp_eq_u32 s0, 46
	s_mov_b32 s7, 0
	s_cbranch_scc0 .LBB7_1337
; %bb.1327:
	global_load_dword v8, v[4:5], off
	s_mov_b32 s4, 0
	s_mov_b32 s6, -1
	s_waitcnt vmcnt(0)
	v_lshlrev_b32_e32 v8, 16, v8
	v_cvt_f64_f32_e32 v[8:9], v8
	s_branch .LBB7_1339
.LBB7_1328:
	s_mov_b32 s6, 0
                                        ; implicit-def: $vgpr8_vgpr9
	s_cbranch_execnz .LBB7_1404
.LBB7_1329:
	s_andn2_b32 vcc_lo, exec_lo, s6
	s_cbranch_vccnz .LBB7_1820
	s_branch .LBB7_1451
.LBB7_1330:
	s_mov_b32 s6, 0
	s_mov_b32 s4, 0
                                        ; implicit-def: $vgpr8_vgpr9
	s_cbranch_execnz .LBB7_1370
	s_branch .LBB7_1400
.LBB7_1331:
	s_mov_b32 s7, -1
	s_mov_b32 s6, 0
	s_mov_b32 s4, 0
                                        ; implicit-def: $vgpr8_vgpr9
	s_branch .LBB7_1349
.LBB7_1332:
	s_mov_b32 s7, -1
	s_mov_b32 s6, 0
	s_mov_b32 s4, 0
                                        ; implicit-def: $vgpr8_vgpr9
	s_branch .LBB7_1344
.LBB7_1333:
	s_or_b32 s1, s12, exec_lo
	s_trap 2
	s_cbranch_execz .LBB7_1264
	s_branch .LBB7_1265
.LBB7_1334:
	s_mov_b32 s7, -1
	s_mov_b32 s6, 0
	s_mov_b32 s4, 0
	s_branch .LBB7_1338
.LBB7_1335:
	s_andn2_saveexec_b32 s12, s12
	s_cbranch_execz .LBB7_1054
.LBB7_1336:
	v_add_f32_e64 v3, 0x42800000, |v2|
	s_andn2_b32 s11, s11, exec_lo
	v_and_b32_e32 v3, 0xff, v3
	v_cmp_ne_u32_e32 vcc_lo, 0, v3
	s_and_b32 s13, vcc_lo, exec_lo
	s_or_b32 s11, s11, s13
	s_or_b32 exec_lo, exec_lo, s12
	v_mov_b32_e32 v4, 0
	s_and_saveexec_b32 s12, s11
	s_cbranch_execnz .LBB7_1055
	s_branch .LBB7_1056
.LBB7_1337:
	s_mov_b32 s4, -1
	s_mov_b32 s6, 0
.LBB7_1338:
                                        ; implicit-def: $vgpr8_vgpr9
.LBB7_1339:
	s_and_b32 vcc_lo, exec_lo, s7
	s_cbranch_vccz .LBB7_1343
; %bb.1340:
	s_cmp_eq_u32 s0, 44
	s_cbranch_scc0 .LBB7_1342
; %bb.1341:
	global_load_ubyte v11, v[4:5], off
	s_mov_b32 s4, 0
	s_mov_b32 s6, -1
	s_waitcnt vmcnt(0)
	v_lshlrev_b32_e32 v8, 23, v11
	v_cmp_ne_u32_e32 vcc_lo, 0xff, v11
	v_cvt_f64_f32_e32 v[8:9], v8
	v_cndmask_b32_e32 v8, 0x20000000, v8, vcc_lo
	v_cndmask_b32_e32 v9, 0x7ff80000, v9, vcc_lo
	v_cmp_ne_u32_e32 vcc_lo, 0, v11
	v_cndmask_b32_e32 v9, 0x38000000, v9, vcc_lo
	v_cndmask_b32_e32 v8, 0, v8, vcc_lo
	s_branch .LBB7_1343
.LBB7_1342:
	s_mov_b32 s4, -1
                                        ; implicit-def: $vgpr8_vgpr9
.LBB7_1343:
	s_mov_b32 s7, 0
.LBB7_1344:
	s_and_b32 vcc_lo, exec_lo, s7
	s_cbranch_vccz .LBB7_1348
; %bb.1345:
	s_cmp_eq_u32 s0, 29
	s_cbranch_scc0 .LBB7_1347
; %bb.1346:
	global_load_dwordx2 v[8:9], v[4:5], off
	s_mov_b32 s4, 0
	s_mov_b32 s6, -1
	s_mov_b32 s7, 0
	s_waitcnt vmcnt(0)
	v_cvt_f64_u32_e32 v[11:12], v9
	v_cvt_f64_u32_e32 v[8:9], v8
	v_ldexp_f64 v[11:12], v[11:12], 32
	v_add_f64 v[8:9], v[11:12], v[8:9]
	s_branch .LBB7_1349
.LBB7_1347:
	s_mov_b32 s4, -1
                                        ; implicit-def: $vgpr8_vgpr9
.LBB7_1348:
	s_mov_b32 s7, 0
.LBB7_1349:
	s_and_b32 vcc_lo, exec_lo, s7
	s_cbranch_vccz .LBB7_1369
; %bb.1350:
	s_cmp_lt_i32 s0, 27
	s_cbranch_scc1 .LBB7_1353
; %bb.1351:
	s_cmp_gt_i32 s0, 27
	s_cbranch_scc0 .LBB7_1354
; %bb.1352:
	global_load_dword v8, v[4:5], off
	s_mov_b32 s6, 0
	s_waitcnt vmcnt(0)
	v_cvt_f64_u32_e32 v[8:9], v8
	s_branch .LBB7_1355
.LBB7_1353:
	s_mov_b32 s6, -1
                                        ; implicit-def: $vgpr8_vgpr9
	s_branch .LBB7_1358
.LBB7_1354:
	s_mov_b32 s6, -1
                                        ; implicit-def: $vgpr8_vgpr9
.LBB7_1355:
	s_andn2_b32 vcc_lo, exec_lo, s6
	s_cbranch_vccnz .LBB7_1357
; %bb.1356:
	global_load_ushort v8, v[4:5], off
	s_waitcnt vmcnt(0)
	v_cvt_f64_u32_e32 v[8:9], v8
.LBB7_1357:
	s_mov_b32 s6, 0
.LBB7_1358:
	s_andn2_b32 vcc_lo, exec_lo, s6
	s_cbranch_vccnz .LBB7_1368
; %bb.1359:
	global_load_ubyte v11, v[4:5], off
	s_mov_b32 s6, 0
	s_mov_b32 s7, exec_lo
	s_waitcnt vmcnt(0)
	v_cmpx_lt_i16_e32 0x7f, v11
	s_xor_b32 s7, exec_lo, s7
	s_cbranch_execz .LBB7_1363
; %bb.1360:
	s_mov_b32 s6, -1
	s_mov_b32 s14, exec_lo
	v_cmpx_eq_u16_e32 0x80, v11
; %bb.1361:
	s_xor_b32 s6, exec_lo, -1
; %bb.1362:
	s_or_b32 exec_lo, exec_lo, s14
	s_and_b32 s6, s6, exec_lo
.LBB7_1363:
	s_or_saveexec_b32 s7, s7
	v_bfrev_b32_e32 v8, 4
	v_mov_b32_e32 v9, 0x7ff80000
	s_xor_b32 exec_lo, exec_lo, s7
; %bb.1364:
	v_cmp_ne_u16_e32 vcc_lo, 0, v11
	v_mov_b32_e32 v8, 0
	v_mov_b32_e32 v9, 0
	s_andn2_b32 s6, s6, exec_lo
	s_and_b32 s14, vcc_lo, exec_lo
	s_or_b32 s6, s6, s14
; %bb.1365:
	s_or_b32 exec_lo, exec_lo, s7
	s_and_saveexec_b32 s7, s6
	s_cbranch_execz .LBB7_1367
; %bb.1366:
	v_and_b32_e32 v8, 0xffff, v11
	v_lshlrev_b32_e32 v11, 24, v11
	v_and_b32_e32 v9, 7, v8
	v_bfe_u32 v15, v8, 3, 4
	v_ffbh_u32_e32 v12, v9
	v_cmp_eq_u32_e32 vcc_lo, 0, v15
	v_min_u32_e32 v12, 32, v12
	v_subrev_nc_u32_e32 v13, 28, v12
	v_sub_nc_u32_e32 v12, 29, v12
	v_lshlrev_b32_e32 v8, v13, v8
	v_cndmask_b32_e32 v12, v15, v12, vcc_lo
	v_and_b32_e32 v8, 7, v8
	v_cndmask_b32_e32 v8, v9, v8, vcc_lo
	v_and_b32_e32 v9, 0x80000000, v11
	v_lshl_add_u32 v11, v12, 23, 0x3b800000
	v_lshlrev_b32_e32 v8, 20, v8
	v_or3_b32 v8, v9, v11, v8
	v_cvt_f64_f32_e32 v[8:9], v8
.LBB7_1367:
	s_or_b32 exec_lo, exec_lo, s7
.LBB7_1368:
	s_mov_b32 s6, -1
.LBB7_1369:
	s_branch .LBB7_1400
.LBB7_1370:
	s_cmp_gt_i32 s0, 22
	s_cbranch_scc0 .LBB7_1382
; %bb.1371:
	s_cmp_lt_i32 s0, 24
	s_cbranch_scc1 .LBB7_1383
; %bb.1372:
	s_cmp_gt_i32 s0, 24
	s_cbranch_scc0 .LBB7_1384
; %bb.1373:
	global_load_ubyte v11, v[4:5], off
	s_mov_b32 s6, exec_lo
	s_waitcnt vmcnt(0)
	v_cmpx_lt_i16_e32 0x7f, v11
	s_xor_b32 s6, exec_lo, s6
	s_cbranch_execz .LBB7_1377
; %bb.1374:
	s_mov_b32 s5, -1
	s_mov_b32 s7, exec_lo
	v_cmpx_eq_u16_e32 0x80, v11
; %bb.1375:
	s_xor_b32 s5, exec_lo, -1
; %bb.1376:
	s_or_b32 exec_lo, exec_lo, s7
	s_and_b32 s5, s5, exec_lo
.LBB7_1377:
	s_or_saveexec_b32 s6, s6
	v_bfrev_b32_e32 v8, 4
	v_mov_b32_e32 v9, 0x7ff80000
	s_xor_b32 exec_lo, exec_lo, s6
; %bb.1378:
	v_cmp_ne_u16_e32 vcc_lo, 0, v11
	v_mov_b32_e32 v8, 0
	v_mov_b32_e32 v9, 0
	s_andn2_b32 s5, s5, exec_lo
	s_and_b32 s7, vcc_lo, exec_lo
	s_or_b32 s5, s5, s7
; %bb.1379:
	s_or_b32 exec_lo, exec_lo, s6
	s_and_saveexec_b32 s6, s5
	s_cbranch_execz .LBB7_1381
; %bb.1380:
	v_and_b32_e32 v8, 0xffff, v11
	v_lshlrev_b32_e32 v11, 24, v11
	v_and_b32_e32 v9, 3, v8
	v_bfe_u32 v15, v8, 2, 5
	v_ffbh_u32_e32 v12, v9
	v_cmp_eq_u32_e32 vcc_lo, 0, v15
	v_min_u32_e32 v12, 32, v12
	v_subrev_nc_u32_e32 v13, 29, v12
	v_sub_nc_u32_e32 v12, 30, v12
	v_lshlrev_b32_e32 v8, v13, v8
	v_cndmask_b32_e32 v12, v15, v12, vcc_lo
	v_and_b32_e32 v8, 3, v8
	v_cndmask_b32_e32 v8, v9, v8, vcc_lo
	v_and_b32_e32 v9, 0x80000000, v11
	v_lshl_add_u32 v11, v12, 23, 0x37800000
	v_lshlrev_b32_e32 v8, 21, v8
	v_or3_b32 v8, v9, v11, v8
	v_cvt_f64_f32_e32 v[8:9], v8
.LBB7_1381:
	s_or_b32 exec_lo, exec_lo, s6
	s_mov_b32 s5, 0
	s_branch .LBB7_1385
.LBB7_1382:
	s_mov_b32 s5, -1
                                        ; implicit-def: $vgpr8_vgpr9
	s_branch .LBB7_1391
.LBB7_1383:
	s_mov_b32 s5, -1
                                        ; implicit-def: $vgpr8_vgpr9
	s_branch .LBB7_1388
.LBB7_1384:
	s_mov_b32 s5, -1
                                        ; implicit-def: $vgpr8_vgpr9
.LBB7_1385:
	s_and_b32 vcc_lo, exec_lo, s5
	s_cbranch_vccz .LBB7_1387
; %bb.1386:
	global_load_ubyte v8, v[4:5], off
	s_waitcnt vmcnt(0)
	v_lshlrev_b32_e32 v8, 24, v8
	v_and_b32_e32 v9, 0x7f000000, v8
	v_ffbh_u32_e32 v11, v9
	v_add_nc_u32_e32 v13, 0x1000000, v9
	v_cmp_ne_u32_e32 vcc_lo, 0, v9
	v_min_u32_e32 v11, 32, v11
	v_sub_nc_u32_e64 v11, v11, 4 clamp
	v_lshlrev_b32_e32 v12, v11, v9
	v_lshlrev_b32_e32 v11, 23, v11
	v_lshrrev_b32_e32 v12, 4, v12
	v_sub_nc_u32_e32 v11, v12, v11
	v_ashrrev_i32_e32 v12, 8, v13
	v_add_nc_u32_e32 v11, 0x3c000000, v11
	v_and_or_b32 v11, 0x7f800000, v12, v11
	v_cndmask_b32_e32 v9, 0, v11, vcc_lo
	v_and_or_b32 v8, 0x80000000, v8, v9
	v_cvt_f64_f32_e32 v[8:9], v8
.LBB7_1387:
	s_mov_b32 s5, 0
.LBB7_1388:
	s_andn2_b32 vcc_lo, exec_lo, s5
	s_cbranch_vccnz .LBB7_1390
; %bb.1389:
	global_load_ubyte v8, v[4:5], off
	s_waitcnt vmcnt(0)
	v_lshlrev_b32_e32 v9, 25, v8
	v_lshlrev_b16 v8, 8, v8
	v_lshrrev_b32_e32 v11, 4, v9
	v_and_or_b32 v12, 0x7f00, v8, 0.5
	v_cmp_gt_u32_e32 vcc_lo, 0x8000000, v9
	v_bfe_i32 v8, v8, 0, 16
	v_or_b32_e32 v11, 0x70000000, v11
	v_add_f32_e32 v12, -0.5, v12
	v_mul_f32_e32 v11, 0x7800000, v11
	v_cndmask_b32_e32 v9, v11, v12, vcc_lo
	v_and_or_b32 v8, 0x80000000, v8, v9
	v_cvt_f64_f32_e32 v[8:9], v8
.LBB7_1390:
	s_mov_b32 s5, 0
	s_mov_b32 s6, -1
.LBB7_1391:
	s_andn2_b32 vcc_lo, exec_lo, s5
	s_mov_b32 s5, 0
	s_cbranch_vccnz .LBB7_1400
; %bb.1392:
	s_cmp_gt_i32 s0, 14
	s_cbranch_scc0 .LBB7_1395
; %bb.1393:
	s_cmp_eq_u32 s0, 15
	s_cbranch_scc0 .LBB7_1396
; %bb.1394:
	global_load_ushort v8, v[4:5], off
	s_mov_b32 s4, 0
	s_mov_b32 s6, -1
	s_waitcnt vmcnt(0)
	v_lshlrev_b32_e32 v8, 16, v8
	v_cvt_f64_f32_e32 v[8:9], v8
	s_branch .LBB7_1398
.LBB7_1395:
	s_mov_b32 s5, -1
	s_branch .LBB7_1397
.LBB7_1396:
	s_mov_b32 s4, -1
.LBB7_1397:
                                        ; implicit-def: $vgpr8_vgpr9
.LBB7_1398:
	s_and_b32 vcc_lo, exec_lo, s5
	s_mov_b32 s5, 0
	s_cbranch_vccz .LBB7_1400
; %bb.1399:
	s_cmp_lg_u32 s0, 11
	s_mov_b32 s5, -1
	s_cselect_b32 s4, -1, 0
.LBB7_1400:
	s_and_b32 vcc_lo, exec_lo, s4
	s_cbranch_vccnz .LBB7_1473
; %bb.1401:
	s_andn2_b32 vcc_lo, exec_lo, s5
	s_cbranch_vccnz .LBB7_1403
.LBB7_1402:
	global_load_ubyte v8, v[4:5], off
	s_mov_b32 s6, -1
	s_waitcnt vmcnt(0)
	v_cmp_ne_u16_e32 vcc_lo, 0, v8
	v_mov_b32_e32 v8, 0
	v_cndmask_b32_e64 v9, 0, 0x3ff00000, vcc_lo
.LBB7_1403:
	s_branch .LBB7_1329
.LBB7_1404:
	s_and_b32 s0, 0xffff, s3
	s_cmp_lt_i32 s0, 5
	s_cbranch_scc1 .LBB7_1409
; %bb.1405:
	s_cmp_lt_i32 s0, 8
	s_cbranch_scc1 .LBB7_1410
; %bb.1406:
	;; [unrolled: 3-line block ×3, first 2 shown]
	s_cmp_gt_i32 s0, 9
	s_cbranch_scc0 .LBB7_1412
; %bb.1408:
	global_load_dwordx2 v[8:9], v[4:5], off
	s_mov_b32 s4, 0
	s_branch .LBB7_1413
.LBB7_1409:
                                        ; implicit-def: $vgpr8_vgpr9
	s_branch .LBB7_1431
.LBB7_1410:
	s_mov_b32 s4, -1
                                        ; implicit-def: $vgpr8_vgpr9
	s_branch .LBB7_1419
.LBB7_1411:
	s_mov_b32 s4, -1
                                        ; implicit-def: $vgpr8_vgpr9
	s_branch .LBB7_1416
.LBB7_1412:
	s_mov_b32 s4, -1
                                        ; implicit-def: $vgpr8_vgpr9
.LBB7_1413:
	s_andn2_b32 vcc_lo, exec_lo, s4
	s_cbranch_vccnz .LBB7_1415
; %bb.1414:
	global_load_dword v8, v[4:5], off
	s_waitcnt vmcnt(0)
	v_cvt_f64_f32_e32 v[8:9], v8
.LBB7_1415:
	s_mov_b32 s4, 0
.LBB7_1416:
	s_andn2_b32 vcc_lo, exec_lo, s4
	s_cbranch_vccnz .LBB7_1418
; %bb.1417:
	global_load_dword v8, v[4:5], off
	s_waitcnt vmcnt(0)
	v_cvt_f32_f16_e32 v8, v8
	v_cvt_f64_f32_e32 v[8:9], v8
.LBB7_1418:
	s_mov_b32 s4, 0
.LBB7_1419:
	s_andn2_b32 vcc_lo, exec_lo, s4
	s_cbranch_vccnz .LBB7_1430
; %bb.1420:
	s_cmp_lt_i32 s0, 6
	s_cbranch_scc1 .LBB7_1423
; %bb.1421:
	s_cmp_gt_i32 s0, 6
	s_cbranch_scc0 .LBB7_1424
; %bb.1422:
	global_load_dwordx2 v[8:9], v[4:5], off
	s_mov_b32 s4, 0
	s_branch .LBB7_1425
.LBB7_1423:
	s_mov_b32 s4, -1
                                        ; implicit-def: $vgpr8_vgpr9
	s_branch .LBB7_1428
.LBB7_1424:
	s_mov_b32 s4, -1
                                        ; implicit-def: $vgpr8_vgpr9
.LBB7_1425:
	s_andn2_b32 vcc_lo, exec_lo, s4
	s_cbranch_vccnz .LBB7_1427
; %bb.1426:
	global_load_dword v8, v[4:5], off
	s_waitcnt vmcnt(0)
	v_cvt_f64_f32_e32 v[8:9], v8
.LBB7_1427:
	s_mov_b32 s4, 0
.LBB7_1428:
	s_andn2_b32 vcc_lo, exec_lo, s4
	s_cbranch_vccnz .LBB7_1430
; %bb.1429:
	global_load_ushort v8, v[4:5], off
	s_waitcnt vmcnt(0)
	v_cvt_f32_f16_e32 v8, v8
	v_cvt_f64_f32_e32 v[8:9], v8
.LBB7_1430:
	s_cbranch_execnz .LBB7_1450
.LBB7_1431:
	s_cmp_lt_i32 s0, 2
	s_cbranch_scc1 .LBB7_1435
; %bb.1432:
	s_cmp_lt_i32 s0, 3
	s_cbranch_scc1 .LBB7_1436
; %bb.1433:
	s_cmp_gt_i32 s0, 3
	s_cbranch_scc0 .LBB7_1437
; %bb.1434:
	global_load_dwordx2 v[8:9], v[4:5], off
	s_mov_b32 s4, 0
	s_waitcnt vmcnt(0)
	v_cvt_f64_i32_e32 v[11:12], v9
	v_cvt_f64_u32_e32 v[8:9], v8
	v_ldexp_f64 v[11:12], v[11:12], 32
	v_add_f64 v[8:9], v[11:12], v[8:9]
	s_branch .LBB7_1438
.LBB7_1435:
	s_mov_b32 s4, -1
                                        ; implicit-def: $vgpr8_vgpr9
	s_branch .LBB7_1444
.LBB7_1436:
	s_mov_b32 s4, -1
                                        ; implicit-def: $vgpr8_vgpr9
	s_branch .LBB7_1441
.LBB7_1437:
	s_mov_b32 s4, -1
                                        ; implicit-def: $vgpr8_vgpr9
.LBB7_1438:
	s_andn2_b32 vcc_lo, exec_lo, s4
	s_cbranch_vccnz .LBB7_1440
; %bb.1439:
	global_load_dword v8, v[4:5], off
	s_waitcnt vmcnt(0)
	v_cvt_f64_i32_e32 v[8:9], v8
.LBB7_1440:
	s_mov_b32 s4, 0
.LBB7_1441:
	s_andn2_b32 vcc_lo, exec_lo, s4
	s_cbranch_vccnz .LBB7_1443
; %bb.1442:
	global_load_sshort v8, v[4:5], off
	s_waitcnt vmcnt(0)
	v_cvt_f64_i32_e32 v[8:9], v8
.LBB7_1443:
	s_mov_b32 s4, 0
.LBB7_1444:
	s_andn2_b32 vcc_lo, exec_lo, s4
	s_cbranch_vccnz .LBB7_1450
; %bb.1445:
	s_cmp_gt_i32 s0, 0
	s_mov_b32 s0, 0
	s_cbranch_scc0 .LBB7_1447
; %bb.1446:
	global_load_sbyte v8, v[4:5], off
	s_waitcnt vmcnt(0)
	v_cvt_f64_i32_e32 v[8:9], v8
	s_branch .LBB7_1448
.LBB7_1447:
	s_mov_b32 s0, -1
                                        ; implicit-def: $vgpr8_vgpr9
.LBB7_1448:
	s_andn2_b32 vcc_lo, exec_lo, s0
	s_cbranch_vccnz .LBB7_1450
; %bb.1449:
	global_load_ubyte v4, v[4:5], off
	s_waitcnt vmcnt(0)
	v_cvt_f64_u32_e32 v[8:9], v4
.LBB7_1450:
.LBB7_1451:
	v_mov_b32_e32 v4, 0
	v_mov_b32_e32 v5, 0
	s_mov_b32 s4, exec_lo
	s_waitcnt vmcnt(0)
	v_cmpx_neq_f64_e64 0x7ff00000, |v[8:9]|
	s_cbranch_execz .LBB7_1461
; %bb.1452:
	s_mov_b32 s5, exec_lo
                                        ; implicit-def: $vgpr4_vgpr5
	v_cmpx_nlt_f64_e64 |v[8:9]|, 0.5
	s_xor_b32 s5, exec_lo, s5
	s_cbranch_execz .LBB7_1458
; %bb.1453:
	v_cmp_ngt_f64_e64 s0, 0x41d00000, |v[8:9]|
                                        ; implicit-def: $vgpr13
                                        ; implicit-def: $vgpr4_vgpr5
                                        ; implicit-def: $vgpr11_vgpr12
	s_and_saveexec_b32 s6, s0
	s_xor_b32 s0, exec_lo, s6
	s_cbranch_execz .LBB7_1455
; %bb.1454:
	v_ldexp_f64 v[4:5], |v[8:9]|, 0xffffff80
	v_cmp_le_f64_e64 vcc_lo, 0x7b000000, |v[8:9]|
	v_trig_preop_f64 v[11:12], |v[8:9]|, 0
	v_and_b32_e32 v13, 0x7fffffff, v9
	v_trig_preop_f64 v[15:16], |v[8:9]|, 1
	v_trig_preop_f64 v[25:26], |v[8:9]|, 2
	v_mov_b32_e32 v33, 0
	s_mov_b32 s6, 0x54442d18
	s_mov_b32 s7, 0x3ff921fb
	s_mov_b32 s14, 0x33145c07
	s_mov_b32 s15, 0x3c91a626
	v_cndmask_b32_e32 v5, v13, v5, vcc_lo
	v_cndmask_b32_e32 v4, v8, v4, vcc_lo
	v_mul_f64 v[17:18], v[11:12], v[4:5]
	v_mul_f64 v[19:20], v[15:16], v[4:5]
	;; [unrolled: 1-line block ×3, first 2 shown]
	v_fma_f64 v[11:12], v[11:12], v[4:5], -v[17:18]
	v_fma_f64 v[15:16], v[15:16], v[4:5], -v[19:20]
	;; [unrolled: 1-line block ×3, first 2 shown]
	v_add_f64 v[21:22], v[19:20], v[11:12]
	v_add_f64 v[23:24], v[21:22], -v[19:20]
	v_add_f64 v[29:30], v[17:18], v[21:22]
	v_add_f64 v[27:28], v[21:22], -v[23:24]
	v_add_f64 v[11:12], v[11:12], -v[23:24]
	v_ldexp_f64 v[23:24], v[29:30], -2
	v_add_f64 v[17:18], v[29:30], -v[17:18]
	v_add_f64 v[19:20], v[19:20], -v[27:28]
	v_add_f64 v[27:28], v[31:32], v[15:16]
	v_cmp_neq_f64_e64 vcc_lo, 0x7ff00000, |v[23:24]|
	v_add_f64 v[17:18], v[21:22], -v[17:18]
	v_add_f64 v[11:12], v[11:12], v[19:20]
	v_fract_f64_e32 v[19:20], v[23:24]
	v_add_f64 v[21:22], v[27:28], v[11:12]
	v_ldexp_f64 v[19:20], v[19:20], 2
	v_add_f64 v[23:24], v[17:18], v[21:22]
	v_cndmask_b32_e32 v20, 0, v20, vcc_lo
	v_cndmask_b32_e32 v19, 0, v19, vcc_lo
	v_add_f64 v[29:30], v[23:24], v[19:20]
	v_add_f64 v[17:18], v[23:24], -v[17:18]
	v_cmp_gt_f64_e32 vcc_lo, 0, v[29:30]
	v_add_f64 v[29:30], v[27:28], -v[31:32]
	v_add_f64 v[17:18], v[21:22], -v[17:18]
	v_cndmask_b32_e64 v34, 0, 0x40100000, vcc_lo
	v_add_f64 v[38:39], v[27:28], -v[29:30]
	v_add_f64 v[15:16], v[15:16], -v[29:30]
	v_add_f64 v[19:20], v[19:20], v[33:34]
	v_add_f64 v[34:35], v[21:22], -v[27:28]
	v_add_f64 v[29:30], v[31:32], -v[38:39]
	v_add_f64 v[36:37], v[23:24], v[19:20]
	;; [unrolled: 3-line block ×3, first 2 shown]
	v_cvt_i32_f64_e32 v13, v[36:37]
	v_add_f64 v[27:28], v[27:28], -v[40:41]
	v_cvt_f64_i32_e32 v[34:35], v13
	v_add_f64 v[11:12], v[11:12], v[27:28]
	v_add_f64 v[19:20], v[19:20], -v[34:35]
	v_add_f64 v[11:12], v[15:16], v[11:12]
	v_add_f64 v[15:16], v[23:24], v[19:20]
	;; [unrolled: 1-line block ×3, first 2 shown]
	v_add_f64 v[11:12], v[15:16], -v[19:20]
	v_cmp_le_f64_e32 vcc_lo, 0.5, v[15:16]
	v_add_f64 v[4:5], v[17:18], v[4:5]
	v_add_f64 v[11:12], v[23:24], -v[11:12]
	v_cndmask_b32_e64 v34, 0, 0x3ff00000, vcc_lo
	v_add_co_ci_u32_e64 v13, null, 0, v13, vcc_lo
	v_add_f64 v[4:5], v[4:5], v[11:12]
	v_add_f64 v[11:12], v[15:16], -v[33:34]
	v_add_f64 v[15:16], v[11:12], v[4:5]
	v_mul_f64 v[17:18], v[15:16], s[6:7]
	v_add_f64 v[11:12], v[15:16], -v[11:12]
	v_fma_f64 v[19:20], v[15:16], s[6:7], -v[17:18]
	v_add_f64 v[4:5], v[4:5], -v[11:12]
	v_fma_f64 v[11:12], v[15:16], s[14:15], v[19:20]
	v_fma_f64 v[11:12], v[4:5], s[6:7], v[11:12]
	v_add_f64 v[4:5], v[17:18], v[11:12]
	v_add_f64 v[15:16], v[4:5], -v[17:18]
	v_add_f64 v[11:12], v[11:12], -v[15:16]
.LBB7_1455:
	s_andn2_saveexec_b32 s0, s0
	s_cbranch_execz .LBB7_1457
; %bb.1456:
	s_mov_b32 s6, 0x6dc9c883
	s_mov_b32 s7, 0x3fe45f30
	;; [unrolled: 1-line block ×3, first 2 shown]
	v_mul_f64 v[4:5], |v[8:9]|, s[6:7]
	s_mov_b32 s6, 0x54442d18
	s_mov_b32 s7, 0xbff921fb
	;; [unrolled: 1-line block ×3, first 2 shown]
	v_rndne_f64_e32 v[15:16], v[4:5]
	v_fma_f64 v[4:5], v[15:16], s[6:7], |v[8:9]|
	v_mul_f64 v[11:12], v[15:16], s[14:15]
	s_mov_b32 s6, 0x252049c0
	s_mov_b32 s7, 0xb97b839a
	v_cvt_i32_f64_e32 v13, v[15:16]
	v_fma_f64 v[19:20], v[15:16], s[14:15], v[4:5]
	v_add_f64 v[17:18], v[4:5], v[11:12]
	s_mov_b32 s15, 0x3c91a626
	v_add_f64 v[4:5], v[4:5], -v[17:18]
	v_add_f64 v[17:18], v[17:18], -v[19:20]
	v_add_f64 v[4:5], v[4:5], v[11:12]
	v_fma_f64 v[11:12], v[15:16], s[14:15], v[11:12]
	v_add_f64 v[4:5], v[17:18], v[4:5]
	v_add_f64 v[4:5], v[4:5], -v[11:12]
	v_fma_f64 v[11:12], v[15:16], s[6:7], v[4:5]
	v_add_f64 v[4:5], v[19:20], v[11:12]
	v_add_f64 v[17:18], v[4:5], -v[19:20]
	v_add_f64 v[11:12], v[11:12], -v[17:18]
.LBB7_1457:
	s_or_b32 exec_lo, exec_lo, s0
	v_mul_f64 v[15:16], v[4:5], v[4:5]
	s_mov_b32 s6, 0xb42fdfa7
	s_mov_b32 s14, 0xf9a43bb8
	;; [unrolled: 1-line block ×6, first 2 shown]
	v_mul_f64 v[25:26], v[11:12], 0.5
	v_cmp_class_f64_e64 s0, v[8:9], 0x1f8
	v_fma_f64 v[17:18], v[15:16], s[14:15], s[6:7]
	s_mov_b32 s6, 0x9037ab78
	s_mov_b32 s14, 0x46cc5e42
	;; [unrolled: 1-line block ×4, first 2 shown]
	v_mul_f64 v[21:22], v[15:16], 0.5
	v_fma_f64 v[19:20], v[15:16], s[14:15], s[6:7]
	s_mov_b32 s6, 0xa17f65f6
	s_mov_b32 s14, 0x19e83e5c
	;; [unrolled: 1-line block ×4, first 2 shown]
	v_mul_f64 v[27:28], v[4:5], -v[15:16]
	v_fma_f64 v[17:18], v[15:16], v[17:18], s[16:17]
	v_add_f64 v[23:24], -v[21:22], 1.0
	v_fma_f64 v[19:20], v[15:16], v[19:20], s[6:7]
	s_mov_b32 s6, 0x19f4ec90
	s_mov_b32 s7, 0x3efa01a0
	v_fma_f64 v[17:18], v[15:16], v[17:18], s[14:15]
	s_mov_b32 s14, 0x11110bb3
	s_mov_b32 s15, 0x3f811111
	v_add_f64 v[29:30], -v[23:24], 1.0
	v_fma_f64 v[19:20], v[15:16], v[19:20], s[6:7]
	s_mov_b32 s6, 0x16c16967
	s_mov_b32 s7, 0xbf56c16c
	v_fma_f64 v[17:18], v[15:16], v[17:18], s[14:15]
	v_add_f64 v[21:22], v[29:30], -v[21:22]
	v_fma_f64 v[19:20], v[15:16], v[19:20], s[6:7]
	s_mov_b32 s7, 0x3fa55555
	s_mov_b32 s6, 0x55555555
	v_fma_f64 v[17:18], v[27:28], v[17:18], v[25:26]
	v_mul_f64 v[25:26], v[15:16], v[15:16]
	v_fma_f64 v[21:22], v[4:5], -v[11:12], v[21:22]
	v_fma_f64 v[19:20], v[15:16], v[19:20], s[6:7]
	s_mov_b32 s7, 0xbfc55555
	v_fma_f64 v[11:12], v[15:16], v[17:18], -v[11:12]
	v_fma_f64 v[15:16], v[25:26], v[19:20], v[21:22]
	v_fma_f64 v[11:12], v[27:28], s[6:7], v[11:12]
	v_add_f64 v[15:16], v[23:24], v[15:16]
	v_add_f64 v[4:5], v[4:5], -v[11:12]
	v_and_b32_e32 v11, 1, v13
	v_cmp_eq_u32_e32 vcc_lo, 0, v11
	v_lshlrev_b32_e32 v11, 30, v13
	v_xor_b32_e32 v11, v11, v9
	v_and_b32_e32 v11, 0x80000000, v11
	v_cndmask_b32_e32 v5, v16, v5, vcc_lo
	v_cndmask_b32_e32 v4, v15, v4, vcc_lo
	v_xor_b32_e32 v5, v5, v11
	v_cndmask_b32_e64 v4, 0, v4, s0
	v_cndmask_b32_e64 v5, 0x7ff80000, v5, s0
	v_div_scale_f64 v[11:12], null, v[8:9], v[8:9], v[4:5]
	v_rcp_f64_e32 v[15:16], v[11:12]
	v_fma_f64 v[17:18], -v[11:12], v[15:16], 1.0
	v_fma_f64 v[15:16], v[15:16], v[17:18], v[15:16]
	v_fma_f64 v[17:18], -v[11:12], v[15:16], 1.0
	v_fma_f64 v[15:16], v[15:16], v[17:18], v[15:16]
	v_div_scale_f64 v[17:18], vcc_lo, v[4:5], v[8:9], v[4:5]
	v_mul_f64 v[19:20], v[17:18], v[15:16]
	v_fma_f64 v[11:12], -v[11:12], v[19:20], v[17:18]
	v_div_fmas_f64 v[11:12], v[11:12], v[15:16], v[19:20]
	v_div_fixup_f64 v[4:5], v[11:12], v[8:9], v[4:5]
                                        ; implicit-def: $vgpr8_vgpr9
.LBB7_1458:
	s_andn2_saveexec_b32 s0, s5
	s_cbranch_execz .LBB7_1460
; %bb.1459:
	v_mul_f64 v[4:5], v[8:9], v[8:9]
	s_mov_b32 s6, 0x67f544e4
	s_mov_b32 s14, 0x13a86d09
	;; [unrolled: 1-line block ×4, first 2 shown]
	v_fma_f64 v[8:9], v[4:5], s[14:15], s[6:7]
	s_mov_b32 s6, 0xa556c734
	s_mov_b32 s7, 0x3ec71de3
	v_fma_f64 v[8:9], v[4:5], v[8:9], s[6:7]
	s_mov_b32 s6, 0x1a01a01a
	s_mov_b32 s7, 0xbf2a01a0
	;; [unrolled: 3-line block ×4, first 2 shown]
	v_fma_f64 v[8:9], v[4:5], v[8:9], s[6:7]
	v_fma_f64 v[4:5], v[4:5], v[8:9], 1.0
.LBB7_1460:
	s_or_b32 exec_lo, exec_lo, s0
.LBB7_1461:
	s_or_b32 exec_lo, exec_lo, s4
	v_add_co_u32 v7, s0, s10, v7
	v_add_co_ci_u32_e64 v8, null, s11, 0, s0
	s_cmp_lt_i32 s3, 11
	s_cbranch_scc1 .LBB7_1468
; %bb.1462:
	s_and_b32 s0, 0xffff, s3
	s_mov_b32 s5, 0
	s_cmp_gt_i32 s0, 25
	s_cbranch_scc0 .LBB7_1470
; %bb.1463:
	s_cmp_gt_i32 s0, 28
	s_cbranch_scc0 .LBB7_1471
; %bb.1464:
	;; [unrolled: 3-line block ×4, first 2 shown]
	s_cmp_eq_u32 s0, 46
	s_mov_b32 s7, 0
	s_cbranch_scc0 .LBB7_1475
; %bb.1467:
	global_load_dword v9, v[7:8], off
	s_mov_b32 s4, 0
	s_mov_b32 s6, -1
	s_waitcnt vmcnt(0)
	v_lshlrev_b32_e32 v9, 16, v9
	v_cvt_f64_f32_e32 v[11:12], v9
	s_branch .LBB7_1477
.LBB7_1468:
	s_mov_b32 s6, 0
                                        ; implicit-def: $vgpr11_vgpr12
	s_cbranch_execnz .LBB7_1543
.LBB7_1469:
	s_andn2_b32 vcc_lo, exec_lo, s6
	s_cbranch_vccnz .LBB7_1820
	s_branch .LBB7_1591
.LBB7_1470:
	s_mov_b32 s7, -1
	s_mov_b32 s6, 0
	s_mov_b32 s4, 0
                                        ; implicit-def: $vgpr11_vgpr12
	s_branch .LBB7_1508
.LBB7_1471:
	s_mov_b32 s7, -1
	s_mov_b32 s6, 0
	s_mov_b32 s4, 0
                                        ; implicit-def: $vgpr11_vgpr12
	s_branch .LBB7_1487
.LBB7_1472:
	s_mov_b32 s7, -1
	s_mov_b32 s6, 0
	s_mov_b32 s4, 0
                                        ; implicit-def: $vgpr11_vgpr12
	s_branch .LBB7_1482
.LBB7_1473:
	s_or_b32 s1, s1, exec_lo
	s_trap 2
	s_cbranch_execz .LBB7_1402
	s_branch .LBB7_1403
.LBB7_1474:
	s_mov_b32 s7, -1
	s_mov_b32 s6, 0
	s_mov_b32 s4, 0
	s_branch .LBB7_1476
.LBB7_1475:
	s_mov_b32 s4, -1
	s_mov_b32 s6, 0
.LBB7_1476:
                                        ; implicit-def: $vgpr11_vgpr12
.LBB7_1477:
	s_and_b32 vcc_lo, exec_lo, s7
	s_cbranch_vccz .LBB7_1481
; %bb.1478:
	s_cmp_eq_u32 s0, 44
	s_cbranch_scc0 .LBB7_1480
; %bb.1479:
	global_load_ubyte v9, v[7:8], off
	s_mov_b32 s4, 0
	s_mov_b32 s6, -1
	s_waitcnt vmcnt(0)
	v_lshlrev_b32_e32 v11, 23, v9
	v_cmp_ne_u32_e32 vcc_lo, 0xff, v9
	v_cvt_f64_f32_e32 v[11:12], v11
	v_cndmask_b32_e32 v11, 0x20000000, v11, vcc_lo
	v_cndmask_b32_e32 v12, 0x7ff80000, v12, vcc_lo
	v_cmp_ne_u32_e32 vcc_lo, 0, v9
	v_cndmask_b32_e32 v12, 0x38000000, v12, vcc_lo
	v_cndmask_b32_e32 v11, 0, v11, vcc_lo
	s_branch .LBB7_1481
.LBB7_1480:
	s_mov_b32 s4, -1
                                        ; implicit-def: $vgpr11_vgpr12
.LBB7_1481:
	s_mov_b32 s7, 0
.LBB7_1482:
	s_and_b32 vcc_lo, exec_lo, s7
	s_cbranch_vccz .LBB7_1486
; %bb.1483:
	s_cmp_eq_u32 s0, 29
	s_cbranch_scc0 .LBB7_1485
; %bb.1484:
	global_load_dwordx2 v[11:12], v[7:8], off
	s_mov_b32 s4, 0
	s_mov_b32 s6, -1
	s_mov_b32 s7, 0
	s_waitcnt vmcnt(0)
	v_cvt_f64_u32_e32 v[12:13], v12
	v_cvt_f64_u32_e32 v[15:16], v11
	v_ldexp_f64 v[12:13], v[12:13], 32
	v_add_f64 v[11:12], v[12:13], v[15:16]
	s_branch .LBB7_1487
.LBB7_1485:
	s_mov_b32 s4, -1
                                        ; implicit-def: $vgpr11_vgpr12
.LBB7_1486:
	s_mov_b32 s7, 0
.LBB7_1487:
	s_and_b32 vcc_lo, exec_lo, s7
	s_cbranch_vccz .LBB7_1507
; %bb.1488:
	s_cmp_lt_i32 s0, 27
	s_cbranch_scc1 .LBB7_1491
; %bb.1489:
	s_cmp_gt_i32 s0, 27
	s_cbranch_scc0 .LBB7_1492
; %bb.1490:
	global_load_dword v9, v[7:8], off
	s_mov_b32 s6, 0
	s_waitcnt vmcnt(0)
	v_cvt_f64_u32_e32 v[11:12], v9
	s_branch .LBB7_1493
.LBB7_1491:
	s_mov_b32 s6, -1
                                        ; implicit-def: $vgpr11_vgpr12
	s_branch .LBB7_1496
.LBB7_1492:
	s_mov_b32 s6, -1
                                        ; implicit-def: $vgpr11_vgpr12
.LBB7_1493:
	s_andn2_b32 vcc_lo, exec_lo, s6
	s_cbranch_vccnz .LBB7_1495
; %bb.1494:
	global_load_ushort v9, v[7:8], off
	s_waitcnt vmcnt(0)
	v_cvt_f64_u32_e32 v[11:12], v9
.LBB7_1495:
	s_mov_b32 s6, 0
.LBB7_1496:
	s_andn2_b32 vcc_lo, exec_lo, s6
	s_cbranch_vccnz .LBB7_1506
; %bb.1497:
	global_load_ubyte v9, v[7:8], off
	s_mov_b32 s6, 0
	s_mov_b32 s7, exec_lo
	s_waitcnt vmcnt(0)
	v_cmpx_lt_i16_e32 0x7f, v9
	s_xor_b32 s7, exec_lo, s7
	s_cbranch_execz .LBB7_1501
; %bb.1498:
	s_mov_b32 s6, -1
	s_mov_b32 s14, exec_lo
	v_cmpx_eq_u16_e32 0x80, v9
; %bb.1499:
	s_xor_b32 s6, exec_lo, -1
; %bb.1500:
	s_or_b32 exec_lo, exec_lo, s14
	s_and_b32 s6, s6, exec_lo
.LBB7_1501:
	s_or_saveexec_b32 s7, s7
	v_bfrev_b32_e32 v11, 4
	v_mov_b32_e32 v12, 0x7ff80000
	s_xor_b32 exec_lo, exec_lo, s7
; %bb.1502:
	v_cmp_ne_u16_e32 vcc_lo, 0, v9
	v_mov_b32_e32 v11, 0
	v_mov_b32_e32 v12, 0
	s_andn2_b32 s6, s6, exec_lo
	s_and_b32 s14, vcc_lo, exec_lo
	s_or_b32 s6, s6, s14
; %bb.1503:
	s_or_b32 exec_lo, exec_lo, s7
	s_and_saveexec_b32 s7, s6
	s_cbranch_execz .LBB7_1505
; %bb.1504:
	v_and_b32_e32 v11, 0xffff, v9
	v_lshlrev_b32_e32 v9, 24, v9
	v_and_b32_e32 v12, 7, v11
	v_bfe_u32 v16, v11, 3, 4
	v_and_b32_e32 v9, 0x80000000, v9
	v_ffbh_u32_e32 v13, v12
	v_cmp_eq_u32_e32 vcc_lo, 0, v16
	v_min_u32_e32 v13, 32, v13
	v_subrev_nc_u32_e32 v15, 28, v13
	v_sub_nc_u32_e32 v13, 29, v13
	v_lshlrev_b32_e32 v11, v15, v11
	v_cndmask_b32_e32 v13, v16, v13, vcc_lo
	v_and_b32_e32 v11, 7, v11
	v_cndmask_b32_e32 v11, v12, v11, vcc_lo
	v_lshl_add_u32 v12, v13, 23, 0x3b800000
	v_lshlrev_b32_e32 v11, 20, v11
	v_or3_b32 v9, v9, v12, v11
	v_cvt_f64_f32_e32 v[11:12], v9
.LBB7_1505:
	s_or_b32 exec_lo, exec_lo, s7
.LBB7_1506:
	s_mov_b32 s6, -1
.LBB7_1507:
	s_mov_b32 s7, 0
.LBB7_1508:
	s_and_b32 vcc_lo, exec_lo, s7
	s_cbranch_vccz .LBB7_1539
; %bb.1509:
	s_cmp_gt_i32 s0, 22
	s_cbranch_scc0 .LBB7_1521
; %bb.1510:
	s_cmp_lt_i32 s0, 24
	s_cbranch_scc1 .LBB7_1522
; %bb.1511:
	s_cmp_gt_i32 s0, 24
	s_cbranch_scc0 .LBB7_1523
; %bb.1512:
	global_load_ubyte v9, v[7:8], off
	s_mov_b32 s6, exec_lo
	s_waitcnt vmcnt(0)
	v_cmpx_lt_i16_e32 0x7f, v9
	s_xor_b32 s6, exec_lo, s6
	s_cbranch_execz .LBB7_1516
; %bb.1513:
	s_mov_b32 s5, -1
	s_mov_b32 s7, exec_lo
	v_cmpx_eq_u16_e32 0x80, v9
; %bb.1514:
	s_xor_b32 s5, exec_lo, -1
; %bb.1515:
	s_or_b32 exec_lo, exec_lo, s7
	s_and_b32 s5, s5, exec_lo
.LBB7_1516:
	s_or_saveexec_b32 s6, s6
	v_bfrev_b32_e32 v11, 4
	v_mov_b32_e32 v12, 0x7ff80000
	s_xor_b32 exec_lo, exec_lo, s6
; %bb.1517:
	v_cmp_ne_u16_e32 vcc_lo, 0, v9
	v_mov_b32_e32 v11, 0
	v_mov_b32_e32 v12, 0
	s_andn2_b32 s5, s5, exec_lo
	s_and_b32 s7, vcc_lo, exec_lo
	s_or_b32 s5, s5, s7
; %bb.1518:
	s_or_b32 exec_lo, exec_lo, s6
	s_and_saveexec_b32 s6, s5
	s_cbranch_execz .LBB7_1520
; %bb.1519:
	v_and_b32_e32 v11, 0xffff, v9
	v_lshlrev_b32_e32 v9, 24, v9
	v_and_b32_e32 v12, 3, v11
	v_bfe_u32 v16, v11, 2, 5
	v_and_b32_e32 v9, 0x80000000, v9
	v_ffbh_u32_e32 v13, v12
	v_cmp_eq_u32_e32 vcc_lo, 0, v16
	v_min_u32_e32 v13, 32, v13
	v_subrev_nc_u32_e32 v15, 29, v13
	v_sub_nc_u32_e32 v13, 30, v13
	v_lshlrev_b32_e32 v11, v15, v11
	v_cndmask_b32_e32 v13, v16, v13, vcc_lo
	v_and_b32_e32 v11, 3, v11
	v_cndmask_b32_e32 v11, v12, v11, vcc_lo
	v_lshl_add_u32 v12, v13, 23, 0x37800000
	v_lshlrev_b32_e32 v11, 21, v11
	v_or3_b32 v9, v9, v12, v11
	v_cvt_f64_f32_e32 v[11:12], v9
.LBB7_1520:
	s_or_b32 exec_lo, exec_lo, s6
	s_mov_b32 s5, 0
	s_branch .LBB7_1524
.LBB7_1521:
	s_mov_b32 s5, -1
                                        ; implicit-def: $vgpr11_vgpr12
	s_branch .LBB7_1530
.LBB7_1522:
	s_mov_b32 s5, -1
                                        ; implicit-def: $vgpr11_vgpr12
	s_branch .LBB7_1527
.LBB7_1523:
	s_mov_b32 s5, -1
                                        ; implicit-def: $vgpr11_vgpr12
.LBB7_1524:
	s_and_b32 vcc_lo, exec_lo, s5
	s_cbranch_vccz .LBB7_1526
; %bb.1525:
	global_load_ubyte v9, v[7:8], off
	s_waitcnt vmcnt(0)
	v_lshlrev_b32_e32 v9, 24, v9
	v_and_b32_e32 v11, 0x7f000000, v9
	v_ffbh_u32_e32 v12, v11
	v_add_nc_u32_e32 v15, 0x1000000, v11
	v_cmp_ne_u32_e32 vcc_lo, 0, v11
	v_min_u32_e32 v12, 32, v12
	v_sub_nc_u32_e64 v12, v12, 4 clamp
	v_lshlrev_b32_e32 v13, v12, v11
	v_lshlrev_b32_e32 v12, 23, v12
	v_lshrrev_b32_e32 v13, 4, v13
	v_sub_nc_u32_e32 v12, v13, v12
	v_ashrrev_i32_e32 v13, 8, v15
	v_add_nc_u32_e32 v12, 0x3c000000, v12
	v_and_or_b32 v12, 0x7f800000, v13, v12
	v_cndmask_b32_e32 v11, 0, v12, vcc_lo
	v_and_or_b32 v9, 0x80000000, v9, v11
	v_cvt_f64_f32_e32 v[11:12], v9
.LBB7_1526:
	s_mov_b32 s5, 0
.LBB7_1527:
	s_andn2_b32 vcc_lo, exec_lo, s5
	s_cbranch_vccnz .LBB7_1529
; %bb.1528:
	global_load_ubyte v9, v[7:8], off
	s_waitcnt vmcnt(0)
	v_lshlrev_b32_e32 v11, 25, v9
	v_lshlrev_b16 v9, 8, v9
	v_lshrrev_b32_e32 v12, 4, v11
	v_and_or_b32 v13, 0x7f00, v9, 0.5
	v_cmp_gt_u32_e32 vcc_lo, 0x8000000, v11
	v_bfe_i32 v9, v9, 0, 16
	v_or_b32_e32 v12, 0x70000000, v12
	v_add_f32_e32 v13, -0.5, v13
	v_mul_f32_e32 v12, 0x7800000, v12
	v_cndmask_b32_e32 v11, v12, v13, vcc_lo
	v_and_or_b32 v9, 0x80000000, v9, v11
	v_cvt_f64_f32_e32 v[11:12], v9
.LBB7_1529:
	s_mov_b32 s5, 0
	s_mov_b32 s6, -1
.LBB7_1530:
	s_andn2_b32 vcc_lo, exec_lo, s5
	s_mov_b32 s5, 0
	s_cbranch_vccnz .LBB7_1539
; %bb.1531:
	s_cmp_gt_i32 s0, 14
	s_cbranch_scc0 .LBB7_1534
; %bb.1532:
	s_cmp_eq_u32 s0, 15
	s_cbranch_scc0 .LBB7_1535
; %bb.1533:
	global_load_ushort v9, v[7:8], off
	s_mov_b32 s4, 0
	s_mov_b32 s6, -1
	s_waitcnt vmcnt(0)
	v_lshlrev_b32_e32 v9, 16, v9
	v_cvt_f64_f32_e32 v[11:12], v9
	s_branch .LBB7_1537
.LBB7_1534:
	s_mov_b32 s5, -1
	s_branch .LBB7_1536
.LBB7_1535:
	s_mov_b32 s4, -1
.LBB7_1536:
                                        ; implicit-def: $vgpr11_vgpr12
.LBB7_1537:
	s_and_b32 vcc_lo, exec_lo, s5
	s_mov_b32 s5, 0
	s_cbranch_vccz .LBB7_1539
; %bb.1538:
	s_cmp_lg_u32 s0, 11
	s_mov_b32 s5, -1
	s_cselect_b32 s4, -1, 0
.LBB7_1539:
	s_and_b32 vcc_lo, exec_lo, s4
	s_cbranch_vccnz .LBB7_1612
; %bb.1540:
	s_andn2_b32 vcc_lo, exec_lo, s5
	s_cbranch_vccnz .LBB7_1542
.LBB7_1541:
	global_load_ubyte v9, v[7:8], off
	v_mov_b32_e32 v11, 0
	s_mov_b32 s6, -1
	s_waitcnt vmcnt(0)
	v_cmp_ne_u16_e32 vcc_lo, 0, v9
	v_cndmask_b32_e64 v12, 0, 0x3ff00000, vcc_lo
.LBB7_1542:
	s_branch .LBB7_1469
.LBB7_1543:
	s_and_b32 s0, 0xffff, s3
	s_cmp_lt_i32 s0, 5
	s_cbranch_scc1 .LBB7_1548
; %bb.1544:
	s_cmp_lt_i32 s0, 8
	s_cbranch_scc1 .LBB7_1549
; %bb.1545:
	;; [unrolled: 3-line block ×3, first 2 shown]
	s_cmp_gt_i32 s0, 9
	s_cbranch_scc0 .LBB7_1551
; %bb.1547:
	global_load_dwordx2 v[11:12], v[7:8], off
	s_mov_b32 s4, 0
	s_branch .LBB7_1552
.LBB7_1548:
	s_mov_b32 s4, -1
                                        ; implicit-def: $vgpr11_vgpr12
	s_branch .LBB7_1570
.LBB7_1549:
	s_mov_b32 s4, -1
                                        ; implicit-def: $vgpr11_vgpr12
	s_branch .LBB7_1558
.LBB7_1550:
	s_mov_b32 s4, -1
                                        ; implicit-def: $vgpr11_vgpr12
	s_branch .LBB7_1555
.LBB7_1551:
	s_mov_b32 s4, -1
                                        ; implicit-def: $vgpr11_vgpr12
.LBB7_1552:
	s_andn2_b32 vcc_lo, exec_lo, s4
	s_cbranch_vccnz .LBB7_1554
; %bb.1553:
	global_load_dword v9, v[7:8], off
	s_waitcnt vmcnt(0)
	v_cvt_f64_f32_e32 v[11:12], v9
.LBB7_1554:
	s_mov_b32 s4, 0
.LBB7_1555:
	s_andn2_b32 vcc_lo, exec_lo, s4
	s_cbranch_vccnz .LBB7_1557
; %bb.1556:
	global_load_dword v9, v[7:8], off
	s_waitcnt vmcnt(0)
	v_cvt_f32_f16_e32 v9, v9
	v_cvt_f64_f32_e32 v[11:12], v9
.LBB7_1557:
	s_mov_b32 s4, 0
.LBB7_1558:
	s_andn2_b32 vcc_lo, exec_lo, s4
	s_cbranch_vccnz .LBB7_1569
; %bb.1559:
	s_cmp_lt_i32 s0, 6
	s_cbranch_scc1 .LBB7_1562
; %bb.1560:
	s_cmp_gt_i32 s0, 6
	s_cbranch_scc0 .LBB7_1563
; %bb.1561:
	global_load_dwordx2 v[11:12], v[7:8], off
	s_mov_b32 s4, 0
	s_branch .LBB7_1564
.LBB7_1562:
	s_mov_b32 s4, -1
                                        ; implicit-def: $vgpr11_vgpr12
	s_branch .LBB7_1567
.LBB7_1563:
	s_mov_b32 s4, -1
                                        ; implicit-def: $vgpr11_vgpr12
.LBB7_1564:
	s_andn2_b32 vcc_lo, exec_lo, s4
	s_cbranch_vccnz .LBB7_1566
; %bb.1565:
	global_load_dword v9, v[7:8], off
	s_waitcnt vmcnt(0)
	v_cvt_f64_f32_e32 v[11:12], v9
.LBB7_1566:
	s_mov_b32 s4, 0
.LBB7_1567:
	s_andn2_b32 vcc_lo, exec_lo, s4
	s_cbranch_vccnz .LBB7_1569
; %bb.1568:
	global_load_ushort v9, v[7:8], off
	s_waitcnt vmcnt(0)
	v_cvt_f32_f16_e32 v9, v9
	v_cvt_f64_f32_e32 v[11:12], v9
.LBB7_1569:
	s_mov_b32 s4, 0
.LBB7_1570:
	s_andn2_b32 vcc_lo, exec_lo, s4
	s_cbranch_vccnz .LBB7_1590
; %bb.1571:
	s_cmp_lt_i32 s0, 2
	s_cbranch_scc1 .LBB7_1575
; %bb.1572:
	s_cmp_lt_i32 s0, 3
	s_cbranch_scc1 .LBB7_1576
; %bb.1573:
	s_cmp_gt_i32 s0, 3
	s_cbranch_scc0 .LBB7_1577
; %bb.1574:
	global_load_dwordx2 v[11:12], v[7:8], off
	s_mov_b32 s4, 0
	s_waitcnt vmcnt(0)
	v_cvt_f64_i32_e32 v[12:13], v12
	v_cvt_f64_u32_e32 v[15:16], v11
	v_ldexp_f64 v[12:13], v[12:13], 32
	v_add_f64 v[11:12], v[12:13], v[15:16]
	s_branch .LBB7_1578
.LBB7_1575:
	s_mov_b32 s4, -1
                                        ; implicit-def: $vgpr11_vgpr12
	s_branch .LBB7_1584
.LBB7_1576:
	s_mov_b32 s4, -1
                                        ; implicit-def: $vgpr11_vgpr12
	s_branch .LBB7_1581
.LBB7_1577:
	s_mov_b32 s4, -1
                                        ; implicit-def: $vgpr11_vgpr12
.LBB7_1578:
	s_andn2_b32 vcc_lo, exec_lo, s4
	s_cbranch_vccnz .LBB7_1580
; %bb.1579:
	global_load_dword v9, v[7:8], off
	s_waitcnt vmcnt(0)
	v_cvt_f64_i32_e32 v[11:12], v9
.LBB7_1580:
	s_mov_b32 s4, 0
.LBB7_1581:
	s_andn2_b32 vcc_lo, exec_lo, s4
	s_cbranch_vccnz .LBB7_1583
; %bb.1582:
	global_load_sshort v9, v[7:8], off
	s_waitcnt vmcnt(0)
	v_cvt_f64_i32_e32 v[11:12], v9
.LBB7_1583:
	s_mov_b32 s4, 0
.LBB7_1584:
	s_andn2_b32 vcc_lo, exec_lo, s4
	s_cbranch_vccnz .LBB7_1590
; %bb.1585:
	s_cmp_gt_i32 s0, 0
	s_mov_b32 s0, 0
	s_cbranch_scc0 .LBB7_1587
; %bb.1586:
	global_load_sbyte v9, v[7:8], off
	s_waitcnt vmcnt(0)
	v_cvt_f64_i32_e32 v[11:12], v9
	s_branch .LBB7_1588
.LBB7_1587:
	s_mov_b32 s0, -1
                                        ; implicit-def: $vgpr11_vgpr12
.LBB7_1588:
	s_andn2_b32 vcc_lo, exec_lo, s0
	s_cbranch_vccnz .LBB7_1590
; %bb.1589:
	global_load_ubyte v7, v[7:8], off
	s_waitcnt vmcnt(0)
	v_cvt_f64_u32_e32 v[11:12], v7
.LBB7_1590:
.LBB7_1591:
	v_mov_b32_e32 v8, 0
	v_mov_b32_e32 v9, 0
	s_mov_b32 s4, exec_lo
	s_waitcnt vmcnt(0)
	v_cmpx_neq_f64_e64 0x7ff00000, |v[11:12]|
	s_cbranch_execz .LBB7_1601
; %bb.1592:
	s_mov_b32 s5, exec_lo
                                        ; implicit-def: $vgpr8_vgpr9
	v_cmpx_nlt_f64_e64 |v[11:12]|, 0.5
	s_xor_b32 s5, exec_lo, s5
	s_cbranch_execz .LBB7_1598
; %bb.1593:
	v_cmp_ngt_f64_e64 s0, 0x41d00000, |v[11:12]|
                                        ; implicit-def: $vgpr9
                                        ; implicit-def: $vgpr7_vgpr8
                                        ; implicit-def: $vgpr15_vgpr16
	s_and_saveexec_b32 s6, s0
	s_xor_b32 s0, exec_lo, s6
	s_cbranch_execz .LBB7_1595
; %bb.1594:
	v_ldexp_f64 v[7:8], |v[11:12]|, 0xffffff80
	v_cmp_le_f64_e64 vcc_lo, 0x7b000000, |v[11:12]|
	v_trig_preop_f64 v[15:16], |v[11:12]|, 0
	v_and_b32_e32 v9, 0x7fffffff, v12
	v_trig_preop_f64 v[17:18], |v[11:12]|, 1
	v_trig_preop_f64 v[27:28], |v[11:12]|, 2
	v_mov_b32_e32 v35, 0
	s_mov_b32 s6, 0x54442d18
	s_mov_b32 s7, 0x3ff921fb
	;; [unrolled: 1-line block ×4, first 2 shown]
	v_cndmask_b32_e32 v8, v9, v8, vcc_lo
	v_cndmask_b32_e32 v7, v11, v7, vcc_lo
	v_mul_f64 v[19:20], v[15:16], v[7:8]
	v_mul_f64 v[21:22], v[17:18], v[7:8]
	;; [unrolled: 1-line block ×3, first 2 shown]
	v_fma_f64 v[15:16], v[15:16], v[7:8], -v[19:20]
	v_fma_f64 v[17:18], v[17:18], v[7:8], -v[21:22]
	;; [unrolled: 1-line block ×3, first 2 shown]
	v_add_f64 v[23:24], v[21:22], v[15:16]
	v_add_f64 v[25:26], v[23:24], -v[21:22]
	v_add_f64 v[31:32], v[19:20], v[23:24]
	v_add_f64 v[29:30], v[23:24], -v[25:26]
	v_add_f64 v[15:16], v[15:16], -v[25:26]
	v_ldexp_f64 v[25:26], v[31:32], -2
	v_add_f64 v[19:20], v[31:32], -v[19:20]
	v_add_f64 v[21:22], v[21:22], -v[29:30]
	v_add_f64 v[29:30], v[33:34], v[17:18]
	v_cmp_neq_f64_e64 vcc_lo, 0x7ff00000, |v[25:26]|
	v_add_f64 v[19:20], v[23:24], -v[19:20]
	v_add_f64 v[15:16], v[15:16], v[21:22]
	v_fract_f64_e32 v[21:22], v[25:26]
	v_add_f64 v[23:24], v[29:30], v[15:16]
	v_ldexp_f64 v[21:22], v[21:22], 2
	v_add_f64 v[25:26], v[19:20], v[23:24]
	v_cndmask_b32_e32 v22, 0, v22, vcc_lo
	v_cndmask_b32_e32 v21, 0, v21, vcc_lo
	v_add_f64 v[31:32], v[25:26], v[21:22]
	v_add_f64 v[19:20], v[25:26], -v[19:20]
	v_cmp_gt_f64_e32 vcc_lo, 0, v[31:32]
	v_add_f64 v[31:32], v[29:30], -v[33:34]
	v_add_f64 v[19:20], v[23:24], -v[19:20]
	v_cndmask_b32_e64 v36, 0, 0x40100000, vcc_lo
	v_add_f64 v[40:41], v[29:30], -v[31:32]
	v_add_f64 v[17:18], v[17:18], -v[31:32]
	v_add_f64 v[21:22], v[21:22], v[35:36]
	v_add_f64 v[36:37], v[23:24], -v[29:30]
	v_add_f64 v[31:32], v[33:34], -v[40:41]
	v_add_f64 v[38:39], v[25:26], v[21:22]
	v_add_f64 v[42:43], v[23:24], -v[36:37]
	v_add_f64 v[15:16], v[15:16], -v[36:37]
	v_add_f64 v[17:18], v[17:18], v[31:32]
	v_cvt_i32_f64_e32 v9, v[38:39]
	v_add_f64 v[29:30], v[29:30], -v[42:43]
	v_cvt_f64_i32_e32 v[36:37], v9
	v_add_f64 v[15:16], v[15:16], v[29:30]
	v_add_f64 v[21:22], v[21:22], -v[36:37]
	v_add_f64 v[15:16], v[17:18], v[15:16]
	v_add_f64 v[17:18], v[25:26], v[21:22]
	;; [unrolled: 1-line block ×3, first 2 shown]
	v_add_f64 v[15:16], v[17:18], -v[21:22]
	v_cmp_le_f64_e32 vcc_lo, 0.5, v[17:18]
	v_add_f64 v[7:8], v[19:20], v[7:8]
	v_add_f64 v[15:16], v[25:26], -v[15:16]
	v_cndmask_b32_e64 v36, 0, 0x3ff00000, vcc_lo
	v_add_co_ci_u32_e64 v9, null, 0, v9, vcc_lo
	v_add_f64 v[7:8], v[7:8], v[15:16]
	v_add_f64 v[15:16], v[17:18], -v[35:36]
	v_add_f64 v[17:18], v[15:16], v[7:8]
	v_mul_f64 v[19:20], v[17:18], s[6:7]
	v_add_f64 v[15:16], v[17:18], -v[15:16]
	v_fma_f64 v[21:22], v[17:18], s[6:7], -v[19:20]
	v_add_f64 v[7:8], v[7:8], -v[15:16]
	v_fma_f64 v[15:16], v[17:18], s[14:15], v[21:22]
	v_fma_f64 v[15:16], v[7:8], s[6:7], v[15:16]
	v_add_f64 v[7:8], v[19:20], v[15:16]
	v_add_f64 v[17:18], v[7:8], -v[19:20]
	v_add_f64 v[15:16], v[15:16], -v[17:18]
.LBB7_1595:
	s_andn2_saveexec_b32 s0, s0
	s_cbranch_execz .LBB7_1597
; %bb.1596:
	s_mov_b32 s6, 0x6dc9c883
	s_mov_b32 s7, 0x3fe45f30
	s_mov_b32 s15, 0xbc91a626
	v_mul_f64 v[7:8], |v[11:12]|, s[6:7]
	s_mov_b32 s6, 0x54442d18
	s_mov_b32 s7, 0xbff921fb
	;; [unrolled: 1-line block ×3, first 2 shown]
	v_rndne_f64_e32 v[17:18], v[7:8]
	v_fma_f64 v[7:8], v[17:18], s[6:7], |v[11:12]|
	v_mul_f64 v[15:16], v[17:18], s[14:15]
	s_mov_b32 s6, 0x252049c0
	s_mov_b32 s7, 0xb97b839a
	v_cvt_i32_f64_e32 v9, v[17:18]
	v_fma_f64 v[21:22], v[17:18], s[14:15], v[7:8]
	v_add_f64 v[19:20], v[7:8], v[15:16]
	s_mov_b32 s15, 0x3c91a626
	v_add_f64 v[7:8], v[7:8], -v[19:20]
	v_add_f64 v[19:20], v[19:20], -v[21:22]
	v_add_f64 v[7:8], v[7:8], v[15:16]
	v_fma_f64 v[15:16], v[17:18], s[14:15], v[15:16]
	v_add_f64 v[7:8], v[19:20], v[7:8]
	v_add_f64 v[7:8], v[7:8], -v[15:16]
	v_fma_f64 v[15:16], v[17:18], s[6:7], v[7:8]
	v_add_f64 v[7:8], v[21:22], v[15:16]
	v_add_f64 v[19:20], v[7:8], -v[21:22]
	v_add_f64 v[15:16], v[15:16], -v[19:20]
.LBB7_1597:
	s_or_b32 exec_lo, exec_lo, s0
	v_mul_f64 v[17:18], v[7:8], v[7:8]
	s_mov_b32 s6, 0xb42fdfa7
	s_mov_b32 s14, 0xf9a43bb8
	;; [unrolled: 1-line block ×6, first 2 shown]
	v_mul_f64 v[27:28], v[15:16], 0.5
	v_cmp_class_f64_e64 s0, v[11:12], 0x1f8
	v_and_b32_e32 v13, 1, v9
	v_lshlrev_b32_e32 v9, 30, v9
	v_cmp_eq_u32_e32 vcc_lo, 0, v13
	v_xor_b32_e32 v9, v9, v12
	v_and_b32_e32 v9, 0x80000000, v9
	v_fma_f64 v[19:20], v[17:18], s[14:15], s[6:7]
	s_mov_b32 s6, 0x9037ab78
	s_mov_b32 s14, 0x46cc5e42
	;; [unrolled: 1-line block ×4, first 2 shown]
	v_mul_f64 v[23:24], v[17:18], 0.5
	v_fma_f64 v[21:22], v[17:18], s[14:15], s[6:7]
	s_mov_b32 s6, 0xa17f65f6
	s_mov_b32 s14, 0x19e83e5c
	;; [unrolled: 1-line block ×4, first 2 shown]
	v_mul_f64 v[29:30], v[7:8], -v[17:18]
	v_fma_f64 v[19:20], v[17:18], v[19:20], s[16:17]
	v_add_f64 v[25:26], -v[23:24], 1.0
	v_fma_f64 v[21:22], v[17:18], v[21:22], s[6:7]
	s_mov_b32 s6, 0x19f4ec90
	s_mov_b32 s7, 0x3efa01a0
	v_fma_f64 v[19:20], v[17:18], v[19:20], s[14:15]
	s_mov_b32 s14, 0x11110bb3
	s_mov_b32 s15, 0x3f811111
	v_add_f64 v[31:32], -v[25:26], 1.0
	v_fma_f64 v[21:22], v[17:18], v[21:22], s[6:7]
	s_mov_b32 s6, 0x16c16967
	s_mov_b32 s7, 0xbf56c16c
	v_fma_f64 v[19:20], v[17:18], v[19:20], s[14:15]
	v_add_f64 v[23:24], v[31:32], -v[23:24]
	v_fma_f64 v[21:22], v[17:18], v[21:22], s[6:7]
	s_mov_b32 s7, 0x3fa55555
	s_mov_b32 s6, 0x55555555
	v_fma_f64 v[19:20], v[29:30], v[19:20], v[27:28]
	v_mul_f64 v[27:28], v[17:18], v[17:18]
	v_fma_f64 v[23:24], v[7:8], -v[15:16], v[23:24]
	v_fma_f64 v[21:22], v[17:18], v[21:22], s[6:7]
	s_mov_b32 s7, 0xbfc55555
	v_fma_f64 v[15:16], v[17:18], v[19:20], -v[15:16]
	v_fma_f64 v[17:18], v[27:28], v[21:22], v[23:24]
	v_fma_f64 v[15:16], v[29:30], s[6:7], v[15:16]
	v_add_f64 v[17:18], v[25:26], v[17:18]
	v_add_f64 v[7:8], v[7:8], -v[15:16]
	v_cndmask_b32_e32 v8, v18, v8, vcc_lo
	v_cndmask_b32_e32 v7, v17, v7, vcc_lo
	v_xor_b32_e32 v8, v8, v9
	v_cndmask_b32_e64 v7, 0, v7, s0
	v_cndmask_b32_e64 v8, 0x7ff80000, v8, s0
	v_div_scale_f64 v[15:16], null, v[11:12], v[11:12], v[7:8]
	v_rcp_f64_e32 v[17:18], v[15:16]
	v_fma_f64 v[19:20], -v[15:16], v[17:18], 1.0
	v_fma_f64 v[17:18], v[17:18], v[19:20], v[17:18]
	v_fma_f64 v[19:20], -v[15:16], v[17:18], 1.0
	v_fma_f64 v[17:18], v[17:18], v[19:20], v[17:18]
	v_div_scale_f64 v[19:20], vcc_lo, v[7:8], v[11:12], v[7:8]
	v_mul_f64 v[21:22], v[19:20], v[17:18]
	v_fma_f64 v[15:16], -v[15:16], v[21:22], v[19:20]
	v_div_fmas_f64 v[15:16], v[15:16], v[17:18], v[21:22]
	v_div_fixup_f64 v[8:9], v[15:16], v[11:12], v[7:8]
                                        ; implicit-def: $vgpr11_vgpr12
.LBB7_1598:
	s_andn2_saveexec_b32 s0, s5
	s_cbranch_execz .LBB7_1600
; %bb.1599:
	v_mul_f64 v[7:8], v[11:12], v[11:12]
	s_mov_b32 s6, 0x67f544e4
	s_mov_b32 s14, 0x13a86d09
	;; [unrolled: 1-line block ×4, first 2 shown]
	v_fma_f64 v[11:12], v[7:8], s[14:15], s[6:7]
	s_mov_b32 s6, 0xa556c734
	s_mov_b32 s7, 0x3ec71de3
	v_fma_f64 v[11:12], v[7:8], v[11:12], s[6:7]
	s_mov_b32 s6, 0x1a01a01a
	s_mov_b32 s7, 0xbf2a01a0
	;; [unrolled: 3-line block ×4, first 2 shown]
	v_fma_f64 v[11:12], v[7:8], v[11:12], s[6:7]
	v_fma_f64 v[8:9], v[7:8], v[11:12], 1.0
.LBB7_1600:
	s_or_b32 exec_lo, exec_lo, s0
.LBB7_1601:
	s_or_b32 exec_lo, exec_lo, s4
	v_add_co_u32 v11, s0, s10, v3
	v_add_co_ci_u32_e64 v12, null, s11, 0, s0
	s_cmp_lt_i32 s3, 11
	s_cbranch_scc1 .LBB7_1608
; %bb.1602:
	s_and_b32 s0, 0xffff, s3
	s_mov_b32 s5, 0
	s_cmp_gt_i32 s0, 25
	s_cbranch_scc0 .LBB7_1609
; %bb.1603:
	s_cmp_gt_i32 s0, 28
	s_cbranch_scc0 .LBB7_1610
; %bb.1604:
	;; [unrolled: 3-line block ×4, first 2 shown]
	s_cmp_eq_u32 s0, 46
	s_mov_b32 s7, 0
	s_cbranch_scc0 .LBB7_1614
; %bb.1607:
	global_load_dword v3, v[11:12], off
	s_mov_b32 s4, 0
	s_mov_b32 s6, -1
	s_waitcnt vmcnt(0)
	v_lshlrev_b32_e32 v3, 16, v3
	v_cvt_f64_f32_e32 v[15:16], v3
	s_branch .LBB7_1616
.LBB7_1608:
	s_mov_b32 s0, -1
	s_mov_b32 s6, 0
                                        ; implicit-def: $vgpr15_vgpr16
	s_branch .LBB7_1682
.LBB7_1609:
	s_mov_b32 s7, -1
	s_mov_b32 s6, 0
	s_mov_b32 s4, 0
                                        ; implicit-def: $vgpr15_vgpr16
	s_branch .LBB7_1647
.LBB7_1610:
	s_mov_b32 s7, -1
	s_mov_b32 s6, 0
	s_mov_b32 s4, 0
                                        ; implicit-def: $vgpr15_vgpr16
	s_branch .LBB7_1626
.LBB7_1611:
	s_mov_b32 s7, -1
	s_mov_b32 s6, 0
	s_mov_b32 s4, 0
                                        ; implicit-def: $vgpr15_vgpr16
	s_branch .LBB7_1621
.LBB7_1612:
	s_or_b32 s1, s1, exec_lo
	s_trap 2
	s_cbranch_execz .LBB7_1541
	s_branch .LBB7_1542
.LBB7_1613:
	s_mov_b32 s7, -1
	s_mov_b32 s6, 0
	s_mov_b32 s4, 0
	s_branch .LBB7_1615
.LBB7_1614:
	s_mov_b32 s4, -1
	s_mov_b32 s6, 0
.LBB7_1615:
                                        ; implicit-def: $vgpr15_vgpr16
.LBB7_1616:
	s_and_b32 vcc_lo, exec_lo, s7
	s_cbranch_vccz .LBB7_1620
; %bb.1617:
	s_cmp_eq_u32 s0, 44
	s_cbranch_scc0 .LBB7_1619
; %bb.1618:
	global_load_ubyte v3, v[11:12], off
	s_mov_b32 s4, 0
	s_mov_b32 s6, -1
	s_waitcnt vmcnt(0)
	v_lshlrev_b32_e32 v7, 23, v3
	v_cmp_ne_u32_e32 vcc_lo, 0xff, v3
	v_cvt_f64_f32_e32 v[15:16], v7
	v_cndmask_b32_e32 v7, 0x20000000, v15, vcc_lo
	v_cndmask_b32_e32 v13, 0x7ff80000, v16, vcc_lo
	v_cmp_ne_u32_e32 vcc_lo, 0, v3
	v_cndmask_b32_e32 v16, 0x38000000, v13, vcc_lo
	v_cndmask_b32_e32 v15, 0, v7, vcc_lo
	s_branch .LBB7_1620
.LBB7_1619:
	s_mov_b32 s4, -1
                                        ; implicit-def: $vgpr15_vgpr16
.LBB7_1620:
	s_mov_b32 s7, 0
.LBB7_1621:
	s_and_b32 vcc_lo, exec_lo, s7
	s_cbranch_vccz .LBB7_1625
; %bb.1622:
	s_cmp_eq_u32 s0, 29
	s_cbranch_scc0 .LBB7_1624
; %bb.1623:
	global_load_dwordx2 v[15:16], v[11:12], off
	s_mov_b32 s4, 0
	s_mov_b32 s6, -1
	s_mov_b32 s7, 0
	s_waitcnt vmcnt(0)
	v_cvt_f64_u32_e32 v[16:17], v16
	v_cvt_f64_u32_e32 v[18:19], v15
	v_ldexp_f64 v[16:17], v[16:17], 32
	v_add_f64 v[15:16], v[16:17], v[18:19]
	s_branch .LBB7_1626
.LBB7_1624:
	s_mov_b32 s4, -1
                                        ; implicit-def: $vgpr15_vgpr16
.LBB7_1625:
	s_mov_b32 s7, 0
.LBB7_1626:
	s_and_b32 vcc_lo, exec_lo, s7
	s_cbranch_vccz .LBB7_1646
; %bb.1627:
	s_cmp_lt_i32 s0, 27
	s_cbranch_scc1 .LBB7_1630
; %bb.1628:
	s_cmp_gt_i32 s0, 27
	s_cbranch_scc0 .LBB7_1631
; %bb.1629:
	global_load_dword v3, v[11:12], off
	s_mov_b32 s6, 0
	s_waitcnt vmcnt(0)
	v_cvt_f64_u32_e32 v[15:16], v3
	s_branch .LBB7_1632
.LBB7_1630:
	s_mov_b32 s6, -1
                                        ; implicit-def: $vgpr15_vgpr16
	s_branch .LBB7_1635
.LBB7_1631:
	s_mov_b32 s6, -1
                                        ; implicit-def: $vgpr15_vgpr16
.LBB7_1632:
	s_andn2_b32 vcc_lo, exec_lo, s6
	s_cbranch_vccnz .LBB7_1634
; %bb.1633:
	global_load_ushort v3, v[11:12], off
	s_waitcnt vmcnt(0)
	v_cvt_f64_u32_e32 v[15:16], v3
.LBB7_1634:
	s_mov_b32 s6, 0
.LBB7_1635:
	s_andn2_b32 vcc_lo, exec_lo, s6
	s_cbranch_vccnz .LBB7_1645
; %bb.1636:
	global_load_ubyte v3, v[11:12], off
	s_mov_b32 s6, 0
	s_mov_b32 s7, exec_lo
	s_waitcnt vmcnt(0)
	v_cmpx_lt_i16_e32 0x7f, v3
	s_xor_b32 s7, exec_lo, s7
	s_cbranch_execz .LBB7_1640
; %bb.1637:
	s_mov_b32 s6, -1
	s_mov_b32 s10, exec_lo
	v_cmpx_eq_u16_e32 0x80, v3
; %bb.1638:
	s_xor_b32 s6, exec_lo, -1
; %bb.1639:
	s_or_b32 exec_lo, exec_lo, s10
	s_and_b32 s6, s6, exec_lo
.LBB7_1640:
	s_or_saveexec_b32 s7, s7
	v_bfrev_b32_e32 v15, 4
	v_mov_b32_e32 v16, 0x7ff80000
	s_xor_b32 exec_lo, exec_lo, s7
; %bb.1641:
	v_cmp_ne_u16_e32 vcc_lo, 0, v3
	v_mov_b32_e32 v15, 0
	v_mov_b32_e32 v16, 0
	s_andn2_b32 s6, s6, exec_lo
	s_and_b32 s10, vcc_lo, exec_lo
	s_or_b32 s6, s6, s10
; %bb.1642:
	s_or_b32 exec_lo, exec_lo, s7
	s_and_saveexec_b32 s7, s6
	s_cbranch_execz .LBB7_1644
; %bb.1643:
	v_and_b32_e32 v7, 0xffff, v3
	v_lshlrev_b32_e32 v3, 24, v3
	v_and_b32_e32 v13, 7, v7
	v_bfe_u32 v17, v7, 3, 4
	v_and_b32_e32 v3, 0x80000000, v3
	v_ffbh_u32_e32 v15, v13
	v_cmp_eq_u32_e32 vcc_lo, 0, v17
	v_min_u32_e32 v15, 32, v15
	v_subrev_nc_u32_e32 v16, 28, v15
	v_sub_nc_u32_e32 v15, 29, v15
	v_lshlrev_b32_e32 v7, v16, v7
	v_cndmask_b32_e32 v15, v17, v15, vcc_lo
	v_and_b32_e32 v7, 7, v7
	v_cndmask_b32_e32 v7, v13, v7, vcc_lo
	v_lshl_add_u32 v13, v15, 23, 0x3b800000
	v_lshlrev_b32_e32 v7, 20, v7
	v_or3_b32 v3, v3, v13, v7
	v_cvt_f64_f32_e32 v[15:16], v3
.LBB7_1644:
	s_or_b32 exec_lo, exec_lo, s7
.LBB7_1645:
	s_mov_b32 s6, -1
.LBB7_1646:
	s_mov_b32 s7, 0
.LBB7_1647:
	s_and_b32 vcc_lo, exec_lo, s7
	s_cbranch_vccz .LBB7_1678
; %bb.1648:
	s_cmp_gt_i32 s0, 22
	s_cbranch_scc0 .LBB7_1660
; %bb.1649:
	s_cmp_lt_i32 s0, 24
	s_cbranch_scc1 .LBB7_1661
; %bb.1650:
	s_cmp_gt_i32 s0, 24
	s_cbranch_scc0 .LBB7_1662
; %bb.1651:
	global_load_ubyte v3, v[11:12], off
	s_mov_b32 s6, exec_lo
	s_waitcnt vmcnt(0)
	v_cmpx_lt_i16_e32 0x7f, v3
	s_xor_b32 s6, exec_lo, s6
	s_cbranch_execz .LBB7_1655
; %bb.1652:
	s_mov_b32 s5, -1
	s_mov_b32 s7, exec_lo
	v_cmpx_eq_u16_e32 0x80, v3
; %bb.1653:
	s_xor_b32 s5, exec_lo, -1
; %bb.1654:
	s_or_b32 exec_lo, exec_lo, s7
	s_and_b32 s5, s5, exec_lo
.LBB7_1655:
	s_or_saveexec_b32 s6, s6
	v_bfrev_b32_e32 v15, 4
	v_mov_b32_e32 v16, 0x7ff80000
	s_xor_b32 exec_lo, exec_lo, s6
; %bb.1656:
	v_cmp_ne_u16_e32 vcc_lo, 0, v3
	v_mov_b32_e32 v15, 0
	v_mov_b32_e32 v16, 0
	s_andn2_b32 s5, s5, exec_lo
	s_and_b32 s7, vcc_lo, exec_lo
	s_or_b32 s5, s5, s7
; %bb.1657:
	s_or_b32 exec_lo, exec_lo, s6
	s_and_saveexec_b32 s6, s5
	s_cbranch_execz .LBB7_1659
; %bb.1658:
	v_and_b32_e32 v7, 0xffff, v3
	v_lshlrev_b32_e32 v3, 24, v3
	v_and_b32_e32 v13, 3, v7
	v_bfe_u32 v17, v7, 2, 5
	v_and_b32_e32 v3, 0x80000000, v3
	v_ffbh_u32_e32 v15, v13
	v_cmp_eq_u32_e32 vcc_lo, 0, v17
	v_min_u32_e32 v15, 32, v15
	v_subrev_nc_u32_e32 v16, 29, v15
	v_sub_nc_u32_e32 v15, 30, v15
	v_lshlrev_b32_e32 v7, v16, v7
	v_cndmask_b32_e32 v15, v17, v15, vcc_lo
	v_and_b32_e32 v7, 3, v7
	v_cndmask_b32_e32 v7, v13, v7, vcc_lo
	v_lshl_add_u32 v13, v15, 23, 0x37800000
	v_lshlrev_b32_e32 v7, 21, v7
	v_or3_b32 v3, v3, v13, v7
	v_cvt_f64_f32_e32 v[15:16], v3
.LBB7_1659:
	s_or_b32 exec_lo, exec_lo, s6
	s_mov_b32 s5, 0
	s_branch .LBB7_1663
.LBB7_1660:
	s_mov_b32 s5, -1
                                        ; implicit-def: $vgpr15_vgpr16
	s_branch .LBB7_1669
.LBB7_1661:
	s_mov_b32 s5, -1
                                        ; implicit-def: $vgpr15_vgpr16
	s_branch .LBB7_1666
.LBB7_1662:
	s_mov_b32 s5, -1
                                        ; implicit-def: $vgpr15_vgpr16
.LBB7_1663:
	s_and_b32 vcc_lo, exec_lo, s5
	s_cbranch_vccz .LBB7_1665
; %bb.1664:
	global_load_ubyte v3, v[11:12], off
	s_waitcnt vmcnt(0)
	v_lshlrev_b32_e32 v3, 24, v3
	v_and_b32_e32 v7, 0x7f000000, v3
	v_ffbh_u32_e32 v13, v7
	v_add_nc_u32_e32 v16, 0x1000000, v7
	v_cmp_ne_u32_e32 vcc_lo, 0, v7
	v_min_u32_e32 v13, 32, v13
	v_sub_nc_u32_e64 v13, v13, 4 clamp
	v_lshlrev_b32_e32 v15, v13, v7
	v_lshlrev_b32_e32 v13, 23, v13
	v_lshrrev_b32_e32 v15, 4, v15
	v_sub_nc_u32_e32 v13, v15, v13
	v_ashrrev_i32_e32 v15, 8, v16
	v_add_nc_u32_e32 v13, 0x3c000000, v13
	v_and_or_b32 v13, 0x7f800000, v15, v13
	v_cndmask_b32_e32 v7, 0, v13, vcc_lo
	v_and_or_b32 v3, 0x80000000, v3, v7
	v_cvt_f64_f32_e32 v[15:16], v3
.LBB7_1665:
	s_mov_b32 s5, 0
.LBB7_1666:
	s_andn2_b32 vcc_lo, exec_lo, s5
	s_cbranch_vccnz .LBB7_1668
; %bb.1667:
	global_load_ubyte v3, v[11:12], off
	s_waitcnt vmcnt(0)
	v_lshlrev_b32_e32 v7, 25, v3
	v_lshlrev_b16 v3, 8, v3
	v_lshrrev_b32_e32 v13, 4, v7
	v_and_or_b32 v15, 0x7f00, v3, 0.5
	v_cmp_gt_u32_e32 vcc_lo, 0x8000000, v7
	v_bfe_i32 v3, v3, 0, 16
	v_or_b32_e32 v13, 0x70000000, v13
	v_add_f32_e32 v15, -0.5, v15
	v_mul_f32_e32 v13, 0x7800000, v13
	v_cndmask_b32_e32 v7, v13, v15, vcc_lo
	v_and_or_b32 v3, 0x80000000, v3, v7
	v_cvt_f64_f32_e32 v[15:16], v3
.LBB7_1668:
	s_mov_b32 s5, 0
	s_mov_b32 s6, -1
.LBB7_1669:
	s_andn2_b32 vcc_lo, exec_lo, s5
	s_mov_b32 s5, 0
	s_cbranch_vccnz .LBB7_1678
; %bb.1670:
	s_cmp_gt_i32 s0, 14
	s_cbranch_scc0 .LBB7_1673
; %bb.1671:
	s_cmp_eq_u32 s0, 15
	s_cbranch_scc0 .LBB7_1674
; %bb.1672:
	global_load_ushort v3, v[11:12], off
	s_mov_b32 s4, 0
	s_mov_b32 s6, -1
	s_waitcnt vmcnt(0)
	v_lshlrev_b32_e32 v3, 16, v3
	v_cvt_f64_f32_e32 v[15:16], v3
	s_branch .LBB7_1676
.LBB7_1673:
	s_mov_b32 s5, -1
	s_branch .LBB7_1675
.LBB7_1674:
	s_mov_b32 s4, -1
.LBB7_1675:
                                        ; implicit-def: $vgpr15_vgpr16
.LBB7_1676:
	s_and_b32 vcc_lo, exec_lo, s5
	s_mov_b32 s5, 0
	s_cbranch_vccz .LBB7_1678
; %bb.1677:
	s_cmp_lg_u32 s0, 11
	s_mov_b32 s5, -1
	s_cselect_b32 s4, -1, 0
.LBB7_1678:
	s_and_b32 vcc_lo, exec_lo, s4
	s_cbranch_vccnz .LBB7_2222
; %bb.1679:
	s_andn2_b32 vcc_lo, exec_lo, s5
	s_cbranch_vccnz .LBB7_1681
.LBB7_1680:
	global_load_ubyte v3, v[11:12], off
	v_mov_b32_e32 v15, 0
	s_mov_b32 s6, -1
	s_waitcnt vmcnt(0)
	v_cmp_ne_u16_e32 vcc_lo, 0, v3
	v_cndmask_b32_e64 v16, 0, 0x3ff00000, vcc_lo
.LBB7_1681:
	s_mov_b32 s0, 0
.LBB7_1682:
	s_and_b32 vcc_lo, exec_lo, s0
	s_cbranch_vccz .LBB7_1731
; %bb.1683:
	s_and_b32 s0, 0xffff, s3
	s_cmp_lt_i32 s0, 5
	s_cbranch_scc1 .LBB7_1688
; %bb.1684:
	s_cmp_lt_i32 s0, 8
	s_cbranch_scc1 .LBB7_1689
; %bb.1685:
	;; [unrolled: 3-line block ×3, first 2 shown]
	s_cmp_gt_i32 s0, 9
	s_cbranch_scc0 .LBB7_1691
; %bb.1687:
	global_load_dwordx2 v[15:16], v[11:12], off
	s_mov_b32 s3, 0
	s_branch .LBB7_1692
.LBB7_1688:
	s_mov_b32 s3, -1
                                        ; implicit-def: $vgpr15_vgpr16
	s_branch .LBB7_1710
.LBB7_1689:
	s_mov_b32 s3, -1
                                        ; implicit-def: $vgpr15_vgpr16
	s_branch .LBB7_1698
.LBB7_1690:
	s_mov_b32 s3, -1
                                        ; implicit-def: $vgpr15_vgpr16
	s_branch .LBB7_1695
.LBB7_1691:
	s_mov_b32 s3, -1
                                        ; implicit-def: $vgpr15_vgpr16
.LBB7_1692:
	s_andn2_b32 vcc_lo, exec_lo, s3
	s_cbranch_vccnz .LBB7_1694
; %bb.1693:
	global_load_dword v3, v[11:12], off
	s_waitcnt vmcnt(0)
	v_cvt_f64_f32_e32 v[15:16], v3
.LBB7_1694:
	s_mov_b32 s3, 0
.LBB7_1695:
	s_andn2_b32 vcc_lo, exec_lo, s3
	s_cbranch_vccnz .LBB7_1697
; %bb.1696:
	global_load_dword v3, v[11:12], off
	s_waitcnt vmcnt(0)
	v_cvt_f32_f16_e32 v3, v3
	v_cvt_f64_f32_e32 v[15:16], v3
.LBB7_1697:
	s_mov_b32 s3, 0
.LBB7_1698:
	s_andn2_b32 vcc_lo, exec_lo, s3
	s_cbranch_vccnz .LBB7_1709
; %bb.1699:
	s_cmp_lt_i32 s0, 6
	s_cbranch_scc1 .LBB7_1702
; %bb.1700:
	s_cmp_gt_i32 s0, 6
	s_cbranch_scc0 .LBB7_1703
; %bb.1701:
	global_load_dwordx2 v[15:16], v[11:12], off
	s_mov_b32 s3, 0
	s_branch .LBB7_1704
.LBB7_1702:
	s_mov_b32 s3, -1
                                        ; implicit-def: $vgpr15_vgpr16
	s_branch .LBB7_1707
.LBB7_1703:
	s_mov_b32 s3, -1
                                        ; implicit-def: $vgpr15_vgpr16
.LBB7_1704:
	s_andn2_b32 vcc_lo, exec_lo, s3
	s_cbranch_vccnz .LBB7_1706
; %bb.1705:
	global_load_dword v3, v[11:12], off
	s_waitcnt vmcnt(0)
	v_cvt_f64_f32_e32 v[15:16], v3
.LBB7_1706:
	s_mov_b32 s3, 0
.LBB7_1707:
	s_andn2_b32 vcc_lo, exec_lo, s3
	s_cbranch_vccnz .LBB7_1709
; %bb.1708:
	global_load_ushort v3, v[11:12], off
	s_waitcnt vmcnt(0)
	v_cvt_f32_f16_e32 v3, v3
	v_cvt_f64_f32_e32 v[15:16], v3
.LBB7_1709:
	s_mov_b32 s3, 0
.LBB7_1710:
	s_andn2_b32 vcc_lo, exec_lo, s3
	s_cbranch_vccnz .LBB7_1730
; %bb.1711:
	s_cmp_lt_i32 s0, 2
	s_cbranch_scc1 .LBB7_1715
; %bb.1712:
	s_cmp_lt_i32 s0, 3
	s_cbranch_scc1 .LBB7_1716
; %bb.1713:
	s_cmp_gt_i32 s0, 3
	s_cbranch_scc0 .LBB7_1717
; %bb.1714:
	global_load_dwordx2 v[15:16], v[11:12], off
	s_mov_b32 s3, 0
	s_waitcnt vmcnt(0)
	v_cvt_f64_i32_e32 v[16:17], v16
	v_cvt_f64_u32_e32 v[18:19], v15
	v_ldexp_f64 v[16:17], v[16:17], 32
	v_add_f64 v[15:16], v[16:17], v[18:19]
	s_branch .LBB7_1718
.LBB7_1715:
	s_mov_b32 s3, -1
                                        ; implicit-def: $vgpr15_vgpr16
	s_branch .LBB7_1724
.LBB7_1716:
	s_mov_b32 s3, -1
                                        ; implicit-def: $vgpr15_vgpr16
	s_branch .LBB7_1721
.LBB7_1717:
	s_mov_b32 s3, -1
                                        ; implicit-def: $vgpr15_vgpr16
.LBB7_1718:
	s_andn2_b32 vcc_lo, exec_lo, s3
	s_cbranch_vccnz .LBB7_1720
; %bb.1719:
	global_load_dword v3, v[11:12], off
	s_waitcnt vmcnt(0)
	v_cvt_f64_i32_e32 v[15:16], v3
.LBB7_1720:
	s_mov_b32 s3, 0
.LBB7_1721:
	s_andn2_b32 vcc_lo, exec_lo, s3
	s_cbranch_vccnz .LBB7_1723
; %bb.1722:
	global_load_sshort v3, v[11:12], off
	s_waitcnt vmcnt(0)
	v_cvt_f64_i32_e32 v[15:16], v3
.LBB7_1723:
	s_mov_b32 s3, 0
.LBB7_1724:
	s_andn2_b32 vcc_lo, exec_lo, s3
	s_cbranch_vccnz .LBB7_1730
; %bb.1725:
	s_cmp_gt_i32 s0, 0
	s_mov_b32 s0, 0
	s_cbranch_scc0 .LBB7_1727
; %bb.1726:
	global_load_sbyte v3, v[11:12], off
	s_waitcnt vmcnt(0)
	v_cvt_f64_i32_e32 v[15:16], v3
	s_branch .LBB7_1728
.LBB7_1727:
	s_mov_b32 s0, -1
                                        ; implicit-def: $vgpr15_vgpr16
.LBB7_1728:
	s_andn2_b32 vcc_lo, exec_lo, s0
	s_cbranch_vccnz .LBB7_1730
; %bb.1729:
	global_load_ubyte v3, v[11:12], off
	s_waitcnt vmcnt(0)
	v_cvt_f64_u32_e32 v[15:16], v3
.LBB7_1730:
	s_mov_b32 s6, -1
.LBB7_1731:
	s_andn2_b32 vcc_lo, exec_lo, s6
	s_cbranch_vccnz .LBB7_1820
; %bb.1732:
	v_mov_b32_e32 v12, 0
	v_mov_b32_e32 v13, 0
	s_mov_b32 s3, exec_lo
	s_waitcnt vmcnt(0)
	v_cmpx_neq_f64_e64 0x7ff00000, |v[15:16]|
	s_cbranch_execz .LBB7_1742
; %bb.1733:
	s_mov_b32 s4, exec_lo
                                        ; implicit-def: $vgpr12_vgpr13
	v_cmpx_nlt_f64_e64 |v[15:16]|, 0.5
	s_xor_b32 s4, exec_lo, s4
	s_cbranch_execz .LBB7_1739
; %bb.1734:
	v_cmp_ngt_f64_e64 s0, 0x41d00000, |v[15:16]|
                                        ; implicit-def: $vgpr3
                                        ; implicit-def: $vgpr11_vgpr12
                                        ; implicit-def: $vgpr17_vgpr18
	s_and_saveexec_b32 s5, s0
	s_xor_b32 s0, exec_lo, s5
	s_cbranch_execz .LBB7_1736
; %bb.1735:
	v_ldexp_f64 v[11:12], |v[15:16]|, 0xffffff80
	v_cmp_le_f64_e64 vcc_lo, 0x7b000000, |v[15:16]|
	v_trig_preop_f64 v[17:18], |v[15:16]|, 0
	v_and_b32_e32 v3, 0x7fffffff, v16
	v_trig_preop_f64 v[19:20], |v[15:16]|, 1
	v_trig_preop_f64 v[29:30], |v[15:16]|, 2
	v_mov_b32_e32 v37, 0
	s_mov_b32 s6, 0x54442d18
	s_mov_b32 s7, 0x3ff921fb
	;; [unrolled: 1-line block ×4, first 2 shown]
	v_cndmask_b32_e32 v12, v3, v12, vcc_lo
	v_cndmask_b32_e32 v11, v15, v11, vcc_lo
	v_mul_f64 v[21:22], v[17:18], v[11:12]
	v_mul_f64 v[23:24], v[19:20], v[11:12]
	;; [unrolled: 1-line block ×3, first 2 shown]
	v_fma_f64 v[17:18], v[17:18], v[11:12], -v[21:22]
	v_fma_f64 v[19:20], v[19:20], v[11:12], -v[23:24]
	;; [unrolled: 1-line block ×3, first 2 shown]
	v_add_f64 v[25:26], v[23:24], v[17:18]
	v_add_f64 v[27:28], v[25:26], -v[23:24]
	v_add_f64 v[33:34], v[21:22], v[25:26]
	v_add_f64 v[31:32], v[25:26], -v[27:28]
	v_add_f64 v[17:18], v[17:18], -v[27:28]
	v_ldexp_f64 v[27:28], v[33:34], -2
	v_add_f64 v[21:22], v[33:34], -v[21:22]
	v_add_f64 v[23:24], v[23:24], -v[31:32]
	v_add_f64 v[31:32], v[35:36], v[19:20]
	v_cmp_neq_f64_e64 vcc_lo, 0x7ff00000, |v[27:28]|
	v_add_f64 v[21:22], v[25:26], -v[21:22]
	v_add_f64 v[17:18], v[17:18], v[23:24]
	v_fract_f64_e32 v[23:24], v[27:28]
	v_add_f64 v[25:26], v[31:32], v[17:18]
	v_ldexp_f64 v[23:24], v[23:24], 2
	v_add_f64 v[27:28], v[21:22], v[25:26]
	v_cndmask_b32_e32 v24, 0, v24, vcc_lo
	v_cndmask_b32_e32 v23, 0, v23, vcc_lo
	v_add_f64 v[33:34], v[27:28], v[23:24]
	v_add_f64 v[21:22], v[27:28], -v[21:22]
	v_cmp_gt_f64_e32 vcc_lo, 0, v[33:34]
	v_add_f64 v[33:34], v[31:32], -v[35:36]
	v_add_f64 v[21:22], v[25:26], -v[21:22]
	v_cndmask_b32_e64 v38, 0, 0x40100000, vcc_lo
	v_add_f64 v[42:43], v[31:32], -v[33:34]
	v_add_f64 v[19:20], v[19:20], -v[33:34]
	v_add_f64 v[23:24], v[23:24], v[37:38]
	v_add_f64 v[38:39], v[25:26], -v[31:32]
	v_add_f64 v[33:34], v[35:36], -v[42:43]
	v_add_f64 v[40:41], v[27:28], v[23:24]
	;; [unrolled: 3-line block ×3, first 2 shown]
	v_cvt_i32_f64_e32 v3, v[40:41]
	v_add_f64 v[31:32], v[31:32], -v[44:45]
	v_cvt_f64_i32_e32 v[38:39], v3
	v_add_f64 v[17:18], v[17:18], v[31:32]
	v_add_f64 v[23:24], v[23:24], -v[38:39]
	v_add_f64 v[17:18], v[19:20], v[17:18]
	v_add_f64 v[19:20], v[27:28], v[23:24]
	;; [unrolled: 1-line block ×3, first 2 shown]
	v_add_f64 v[17:18], v[19:20], -v[23:24]
	v_cmp_le_f64_e32 vcc_lo, 0.5, v[19:20]
	v_add_f64 v[11:12], v[21:22], v[11:12]
	v_add_f64 v[17:18], v[27:28], -v[17:18]
	v_cndmask_b32_e64 v38, 0, 0x3ff00000, vcc_lo
	v_add_co_ci_u32_e64 v3, null, 0, v3, vcc_lo
	v_add_f64 v[11:12], v[11:12], v[17:18]
	v_add_f64 v[17:18], v[19:20], -v[37:38]
	v_add_f64 v[19:20], v[17:18], v[11:12]
	v_mul_f64 v[21:22], v[19:20], s[6:7]
	v_add_f64 v[17:18], v[19:20], -v[17:18]
	v_fma_f64 v[23:24], v[19:20], s[6:7], -v[21:22]
	v_add_f64 v[11:12], v[11:12], -v[17:18]
	v_fma_f64 v[17:18], v[19:20], s[10:11], v[23:24]
	v_fma_f64 v[17:18], v[11:12], s[6:7], v[17:18]
	v_add_f64 v[11:12], v[21:22], v[17:18]
	v_add_f64 v[19:20], v[11:12], -v[21:22]
	v_add_f64 v[17:18], v[17:18], -v[19:20]
.LBB7_1736:
	s_andn2_saveexec_b32 s0, s0
	s_cbranch_execz .LBB7_1738
; %bb.1737:
	s_mov_b32 s6, 0x6dc9c883
	s_mov_b32 s7, 0x3fe45f30
	;; [unrolled: 1-line block ×3, first 2 shown]
	v_mul_f64 v[11:12], |v[15:16]|, s[6:7]
	s_mov_b32 s6, 0x54442d18
	s_mov_b32 s7, 0xbff921fb
	;; [unrolled: 1-line block ×3, first 2 shown]
	v_rndne_f64_e32 v[19:20], v[11:12]
	v_fma_f64 v[11:12], v[19:20], s[6:7], |v[15:16]|
	v_mul_f64 v[17:18], v[19:20], s[10:11]
	s_mov_b32 s6, 0x252049c0
	s_mov_b32 s7, 0xb97b839a
	v_cvt_i32_f64_e32 v3, v[19:20]
	v_fma_f64 v[23:24], v[19:20], s[10:11], v[11:12]
	v_add_f64 v[21:22], v[11:12], v[17:18]
	s_mov_b32 s11, 0x3c91a626
	v_add_f64 v[11:12], v[11:12], -v[21:22]
	v_add_f64 v[21:22], v[21:22], -v[23:24]
	v_add_f64 v[11:12], v[11:12], v[17:18]
	v_fma_f64 v[17:18], v[19:20], s[10:11], v[17:18]
	v_add_f64 v[11:12], v[21:22], v[11:12]
	v_add_f64 v[11:12], v[11:12], -v[17:18]
	v_fma_f64 v[17:18], v[19:20], s[6:7], v[11:12]
	v_add_f64 v[11:12], v[23:24], v[17:18]
	v_add_f64 v[21:22], v[11:12], -v[23:24]
	v_add_f64 v[17:18], v[17:18], -v[21:22]
.LBB7_1738:
	s_or_b32 exec_lo, exec_lo, s0
	v_mul_f64 v[19:20], v[11:12], v[11:12]
	s_mov_b32 s6, 0xb42fdfa7
	s_mov_b32 s10, 0xf9a43bb8
	;; [unrolled: 1-line block ×6, first 2 shown]
	v_mul_f64 v[29:30], v[17:18], 0.5
	v_cmp_class_f64_e64 s0, v[15:16], 0x1f8
	v_and_b32_e32 v7, 1, v3
	v_lshlrev_b32_e32 v3, 30, v3
	v_cmp_eq_u32_e32 vcc_lo, 0, v7
	v_xor_b32_e32 v3, v3, v16
	v_and_b32_e32 v3, 0x80000000, v3
	v_fma_f64 v[21:22], v[19:20], s[10:11], s[6:7]
	s_mov_b32 s6, 0x9037ab78
	s_mov_b32 s10, 0x46cc5e42
	;; [unrolled: 1-line block ×4, first 2 shown]
	v_mul_f64 v[25:26], v[19:20], 0.5
	v_fma_f64 v[23:24], v[19:20], s[10:11], s[6:7]
	s_mov_b32 s6, 0xa17f65f6
	s_mov_b32 s10, 0x19e83e5c
	;; [unrolled: 1-line block ×4, first 2 shown]
	v_mul_f64 v[31:32], v[11:12], -v[19:20]
	v_fma_f64 v[21:22], v[19:20], v[21:22], s[14:15]
	v_add_f64 v[27:28], -v[25:26], 1.0
	v_fma_f64 v[23:24], v[19:20], v[23:24], s[6:7]
	s_mov_b32 s6, 0x19f4ec90
	s_mov_b32 s7, 0x3efa01a0
	v_fma_f64 v[21:22], v[19:20], v[21:22], s[10:11]
	s_mov_b32 s10, 0x11110bb3
	s_mov_b32 s11, 0x3f811111
	v_add_f64 v[33:34], -v[27:28], 1.0
	v_fma_f64 v[23:24], v[19:20], v[23:24], s[6:7]
	s_mov_b32 s6, 0x16c16967
	s_mov_b32 s7, 0xbf56c16c
	v_fma_f64 v[21:22], v[19:20], v[21:22], s[10:11]
	v_add_f64 v[25:26], v[33:34], -v[25:26]
	v_fma_f64 v[23:24], v[19:20], v[23:24], s[6:7]
	s_mov_b32 s7, 0x3fa55555
	s_mov_b32 s6, 0x55555555
	v_fma_f64 v[21:22], v[31:32], v[21:22], v[29:30]
	v_mul_f64 v[29:30], v[19:20], v[19:20]
	v_fma_f64 v[25:26], v[11:12], -v[17:18], v[25:26]
	v_fma_f64 v[23:24], v[19:20], v[23:24], s[6:7]
	s_mov_b32 s7, 0xbfc55555
	v_fma_f64 v[17:18], v[19:20], v[21:22], -v[17:18]
	v_fma_f64 v[19:20], v[29:30], v[23:24], v[25:26]
	v_fma_f64 v[17:18], v[31:32], s[6:7], v[17:18]
	v_add_f64 v[19:20], v[27:28], v[19:20]
	v_add_f64 v[11:12], v[11:12], -v[17:18]
	v_cndmask_b32_e32 v7, v19, v11, vcc_lo
	v_cndmask_b32_e32 v11, v20, v12, vcc_lo
	v_xor_b32_e32 v3, v11, v3
	v_cndmask_b32_e64 v11, 0, v7, s0
	v_cndmask_b32_e64 v12, 0x7ff80000, v3, s0
	v_div_scale_f64 v[17:18], null, v[15:16], v[15:16], v[11:12]
	v_rcp_f64_e32 v[19:20], v[17:18]
	v_fma_f64 v[21:22], -v[17:18], v[19:20], 1.0
	v_fma_f64 v[19:20], v[19:20], v[21:22], v[19:20]
	v_fma_f64 v[21:22], -v[17:18], v[19:20], 1.0
	v_fma_f64 v[19:20], v[19:20], v[21:22], v[19:20]
	v_div_scale_f64 v[21:22], vcc_lo, v[11:12], v[15:16], v[11:12]
	v_mul_f64 v[23:24], v[21:22], v[19:20]
	v_fma_f64 v[17:18], -v[17:18], v[23:24], v[21:22]
	v_div_fmas_f64 v[17:18], v[17:18], v[19:20], v[23:24]
	v_div_fixup_f64 v[12:13], v[17:18], v[15:16], v[11:12]
                                        ; implicit-def: $vgpr15_vgpr16
.LBB7_1739:
	s_andn2_saveexec_b32 s0, s4
	s_cbranch_execz .LBB7_1741
; %bb.1740:
	v_mul_f64 v[11:12], v[15:16], v[15:16]
	s_mov_b32 s4, 0x67f544e4
	s_mov_b32 s6, 0x13a86d09
	;; [unrolled: 1-line block ×4, first 2 shown]
	v_fma_f64 v[15:16], v[11:12], s[6:7], s[4:5]
	s_mov_b32 s4, 0xa556c734
	s_mov_b32 s5, 0x3ec71de3
	v_fma_f64 v[15:16], v[11:12], v[15:16], s[4:5]
	s_mov_b32 s4, 0x1a01a01a
	s_mov_b32 s5, 0xbf2a01a0
	;; [unrolled: 3-line block ×4, first 2 shown]
	v_fma_f64 v[15:16], v[11:12], v[15:16], s[4:5]
	v_fma_f64 v[12:13], v[11:12], v[15:16], 1.0
.LBB7_1741:
	s_or_b32 exec_lo, exec_lo, s0
.LBB7_1742:
	s_or_b32 exec_lo, exec_lo, s3
	v_add_co_u32 v15, s0, s8, v2
	v_add_co_ci_u32_e64 v16, null, s9, 0, s0
	s_bfe_u32 s3, s2, 0x80008
	s_cmp_lt_i32 s3, 11
	s_cbranch_scc1 .LBB7_1865
; %bb.1743:
	s_and_b32 s4, 0xffff, s3
	s_mov_b32 s7, -1
	s_mov_b32 s5, 0
	s_cmp_gt_i32 s4, 25
	s_mov_b32 s6, 0
	s_mov_b32 s0, 0
	s_cbranch_scc0 .LBB7_1776
; %bb.1744:
	s_cmp_gt_i32 s4, 28
	s_cbranch_scc0 .LBB7_1759
; %bb.1745:
	s_cmp_gt_i32 s4, 43
	;; [unrolled: 3-line block ×3, first 2 shown]
	s_cbranch_scc0 .LBB7_1749
; %bb.1747:
	s_mov_b32 s0, -1
	s_mov_b32 s7, 0
	s_cmp_eq_u32 s4, 46
	s_cbranch_scc0 .LBB7_1749
; %bb.1748:
	v_cvt_f32_f64_e32 v2, v[0:1]
	s_mov_b32 s0, 0
	s_mov_b32 s6, -1
	v_bfe_u32 v3, v2, 16, 1
	v_cmp_o_f32_e32 vcc_lo, v2, v2
	v_add3_u32 v2, v2, v3, 0x7fff
	v_mov_b32_e32 v3, 0x7fc0
	v_cndmask_b32_sdwa v2, v3, v2, vcc_lo dst_sel:DWORD dst_unused:UNUSED_PAD src0_sel:DWORD src1_sel:WORD_1
	global_store_dword v[15:16], v2, off
.LBB7_1749:
	s_and_b32 vcc_lo, exec_lo, s7
	s_cbranch_vccz .LBB7_1754
; %bb.1750:
	s_cmp_eq_u32 s4, 44
	s_mov_b32 s0, -1
	s_cbranch_scc0 .LBB7_1754
; %bb.1751:
	v_cvt_f32_f64_e32 v2, v[0:1]
	v_mov_b32_e32 v3, 0xff
	s_mov_b32 s6, exec_lo
	v_bfe_u32 v7, v2, 23, 8
	v_cmpx_ne_u32_e32 0xff, v7
	s_cbranch_execz .LBB7_1753
; %bb.1752:
	v_and_b32_e32 v3, 0x400000, v2
	v_and_or_b32 v7, 0x3fffff, v2, v7
	v_lshrrev_b32_e32 v2, 23, v2
	v_cmp_ne_u32_e32 vcc_lo, 0, v3
	v_cmp_ne_u32_e64 s0, 0, v7
	s_and_b32 s0, vcc_lo, s0
	v_cndmask_b32_e64 v3, 0, 1, s0
	v_add_nc_u32_e32 v3, v2, v3
.LBB7_1753:
	s_or_b32 exec_lo, exec_lo, s6
	s_mov_b32 s0, 0
	s_mov_b32 s6, -1
	global_store_byte v[15:16], v3, off
.LBB7_1754:
	s_mov_b32 s7, 0
.LBB7_1755:
	s_and_b32 vcc_lo, exec_lo, s7
	s_cbranch_vccz .LBB7_1758
; %bb.1756:
	s_cmp_eq_u32 s4, 29
	s_mov_b32 s0, -1
	s_cbranch_scc0 .LBB7_1758
; %bb.1757:
	v_trunc_f64_e32 v[2:3], v[0:1]
	s_mov_b32 s0, 0
	s_mov_b32 s6, -1
	v_ldexp_f64 v[17:18], v[2:3], 0xffffffe0
	v_floor_f64_e32 v[17:18], v[17:18]
	v_fma_f64 v[2:3], 0xc1f00000, v[17:18], v[2:3]
	v_cvt_u32_f64_e32 v18, v[17:18]
	v_cvt_u32_f64_e32 v17, v[2:3]
	global_store_dwordx2 v[15:16], v[17:18], off
.LBB7_1758:
	s_mov_b32 s7, 0
.LBB7_1759:
	s_and_b32 vcc_lo, exec_lo, s7
	s_cbranch_vccz .LBB7_1775
; %bb.1760:
	s_cmp_lt_i32 s4, 27
	s_mov_b32 s6, -1
	s_cbranch_scc1 .LBB7_1766
; %bb.1761:
	v_cvt_u32_f64_e32 v2, v[0:1]
	s_cmp_gt_i32 s4, 27
	s_cbranch_scc0 .LBB7_1763
; %bb.1762:
	s_mov_b32 s6, 0
	global_store_dword v[15:16], v2, off
.LBB7_1763:
	s_andn2_b32 vcc_lo, exec_lo, s6
	s_cbranch_vccnz .LBB7_1765
; %bb.1764:
	global_store_short v[15:16], v2, off
.LBB7_1765:
	s_mov_b32 s6, 0
.LBB7_1766:
	s_andn2_b32 vcc_lo, exec_lo, s6
	s_cbranch_vccnz .LBB7_1774
; %bb.1767:
	v_cvt_f32_f64_e32 v2, v[0:1]
	v_mov_b32_e32 v7, 0x80
	s_mov_b32 s6, exec_lo
	v_and_b32_e32 v3, 0x7fffffff, v2
	v_cmpx_gt_u32_e32 0x43800000, v3
	s_cbranch_execz .LBB7_1773
; %bb.1768:
	v_cmp_lt_u32_e32 vcc_lo, 0x3bffffff, v3
	s_mov_b32 s7, 0
                                        ; implicit-def: $vgpr3
	s_and_saveexec_b32 s10, vcc_lo
	s_xor_b32 s10, exec_lo, s10
	s_cbranch_execz .LBB7_2223
; %bb.1769:
	v_bfe_u32 v3, v2, 20, 1
	s_mov_b32 s7, exec_lo
	v_add3_u32 v3, v2, v3, 0x487ffff
	v_lshrrev_b32_e32 v3, 20, v3
	s_andn2_saveexec_b32 s10, s10
	s_cbranch_execnz .LBB7_2224
.LBB7_1770:
	s_or_b32 exec_lo, exec_lo, s10
	v_mov_b32_e32 v7, 0
	s_and_saveexec_b32 s10, s7
.LBB7_1771:
	v_lshrrev_b32_e32 v2, 24, v2
	v_and_or_b32 v7, 0x80, v2, v3
.LBB7_1772:
	s_or_b32 exec_lo, exec_lo, s10
.LBB7_1773:
	s_or_b32 exec_lo, exec_lo, s6
	global_store_byte v[15:16], v7, off
.LBB7_1774:
	s_mov_b32 s6, -1
.LBB7_1775:
	s_mov_b32 s7, 0
.LBB7_1776:
	s_and_b32 vcc_lo, exec_lo, s7
	s_cbranch_vccz .LBB7_1816
; %bb.1777:
	s_cmp_gt_i32 s4, 22
	s_mov_b32 s5, -1
	s_cbranch_scc0 .LBB7_1809
; %bb.1778:
	s_cmp_lt_i32 s4, 24
	s_cbranch_scc1 .LBB7_1798
; %bb.1779:
	s_cmp_gt_i32 s4, 24
	s_cbranch_scc0 .LBB7_1787
; %bb.1780:
	v_cvt_f32_f64_e32 v2, v[0:1]
	v_mov_b32_e32 v7, 0x80
	s_mov_b32 s5, exec_lo
	v_and_b32_e32 v3, 0x7fffffff, v2
	v_cmpx_gt_u32_e32 0x47800000, v3
	s_cbranch_execz .LBB7_1786
; %bb.1781:
	v_cmp_lt_u32_e32 vcc_lo, 0x37ffffff, v3
	s_mov_b32 s6, 0
                                        ; implicit-def: $vgpr3
	s_and_saveexec_b32 s7, vcc_lo
	s_xor_b32 s7, exec_lo, s7
	s_cbranch_execz .LBB7_2226
; %bb.1782:
	v_bfe_u32 v3, v2, 21, 1
	s_mov_b32 s6, exec_lo
	v_add3_u32 v3, v2, v3, 0x88fffff
	v_lshrrev_b32_e32 v3, 21, v3
	s_andn2_saveexec_b32 s7, s7
	s_cbranch_execnz .LBB7_2227
.LBB7_1783:
	s_or_b32 exec_lo, exec_lo, s7
	v_mov_b32_e32 v7, 0
	s_and_saveexec_b32 s7, s6
.LBB7_1784:
	v_lshrrev_b32_e32 v2, 24, v2
	v_and_or_b32 v7, 0x80, v2, v3
.LBB7_1785:
	s_or_b32 exec_lo, exec_lo, s7
.LBB7_1786:
	s_or_b32 exec_lo, exec_lo, s5
	s_mov_b32 s5, 0
	global_store_byte v[15:16], v7, off
.LBB7_1787:
	s_and_b32 vcc_lo, exec_lo, s5
	s_cbranch_vccz .LBB7_1797
; %bb.1788:
	v_cvt_f32_f64_e32 v2, v[0:1]
	s_mov_b32 s5, exec_lo
                                        ; implicit-def: $vgpr3
	v_and_b32_e32 v7, 0x7fffffff, v2
	v_cmpx_gt_u32_e32 0x43f00000, v7
	s_xor_b32 s5, exec_lo, s5
	s_cbranch_execz .LBB7_1794
; %bb.1789:
	s_mov_b32 s6, exec_lo
                                        ; implicit-def: $vgpr3
	v_cmpx_lt_u32_e32 0x3c7fffff, v7
	s_xor_b32 s6, exec_lo, s6
; %bb.1790:
	v_bfe_u32 v3, v2, 20, 1
	v_add3_u32 v3, v2, v3, 0x407ffff
	v_and_b32_e32 v7, 0xff00000, v3
	v_lshrrev_b32_e32 v3, 20, v3
	v_cmp_ne_u32_e32 vcc_lo, 0x7f00000, v7
	v_cndmask_b32_e32 v3, 0x7e, v3, vcc_lo
; %bb.1791:
	s_andn2_saveexec_b32 s6, s6
; %bb.1792:
	v_add_f32_e64 v3, 0x46800000, |v2|
; %bb.1793:
	s_or_b32 exec_lo, exec_lo, s6
                                        ; implicit-def: $vgpr7
.LBB7_1794:
	s_andn2_saveexec_b32 s5, s5
; %bb.1795:
	v_mov_b32_e32 v3, 0x7f
	v_cmp_lt_u32_e32 vcc_lo, 0x7f800000, v7
	v_cndmask_b32_e32 v3, 0x7e, v3, vcc_lo
; %bb.1796:
	s_or_b32 exec_lo, exec_lo, s5
	v_lshrrev_b32_e32 v2, 24, v2
	v_and_or_b32 v2, 0x80, v2, v3
	global_store_byte v[15:16], v2, off
.LBB7_1797:
	s_mov_b32 s5, 0
.LBB7_1798:
	s_andn2_b32 vcc_lo, exec_lo, s5
	s_cbranch_vccnz .LBB7_1808
; %bb.1799:
	v_cvt_f32_f64_e32 v2, v[0:1]
	s_mov_b32 s5, exec_lo
                                        ; implicit-def: $vgpr3
	v_and_b32_e32 v7, 0x7fffffff, v2
	v_cmpx_gt_u32_e32 0x47800000, v7
	s_xor_b32 s5, exec_lo, s5
	s_cbranch_execz .LBB7_1805
; %bb.1800:
	s_mov_b32 s6, exec_lo
                                        ; implicit-def: $vgpr3
	v_cmpx_lt_u32_e32 0x387fffff, v7
	s_xor_b32 s6, exec_lo, s6
; %bb.1801:
	v_bfe_u32 v3, v2, 21, 1
	v_add3_u32 v3, v2, v3, 0x80fffff
	v_lshrrev_b32_e32 v3, 21, v3
; %bb.1802:
	s_andn2_saveexec_b32 s6, s6
; %bb.1803:
	v_add_f32_e64 v3, 0x43000000, |v2|
; %bb.1804:
	s_or_b32 exec_lo, exec_lo, s6
                                        ; implicit-def: $vgpr7
.LBB7_1805:
	s_andn2_saveexec_b32 s5, s5
; %bb.1806:
	v_mov_b32_e32 v3, 0x7f
	v_cmp_lt_u32_e32 vcc_lo, 0x7f800000, v7
	v_cndmask_b32_e32 v3, 0x7c, v3, vcc_lo
; %bb.1807:
	s_or_b32 exec_lo, exec_lo, s5
	v_lshrrev_b32_e32 v2, 24, v2
	v_and_or_b32 v2, 0x80, v2, v3
	global_store_byte v[15:16], v2, off
.LBB7_1808:
	s_mov_b32 s5, 0
	s_mov_b32 s6, -1
.LBB7_1809:
	s_andn2_b32 vcc_lo, exec_lo, s5
	s_mov_b32 s5, 0
	s_cbranch_vccnz .LBB7_1816
; %bb.1810:
	s_cmp_gt_i32 s4, 14
	s_mov_b32 s5, -1
	s_cbranch_scc0 .LBB7_1814
; %bb.1811:
	s_cmp_eq_u32 s4, 15
	s_mov_b32 s0, -1
	s_cbranch_scc0 .LBB7_1813
; %bb.1812:
	v_cvt_f32_f64_e32 v2, v[0:1]
	s_mov_b32 s0, 0
	s_mov_b32 s6, -1
	v_bfe_u32 v3, v2, 16, 1
	v_cmp_o_f32_e32 vcc_lo, v2, v2
	v_add3_u32 v2, v2, v3, 0x7fff
	v_mov_b32_e32 v3, 0x7fc0
	v_cndmask_b32_sdwa v2, v3, v2, vcc_lo dst_sel:DWORD dst_unused:UNUSED_PAD src0_sel:DWORD src1_sel:WORD_1
	global_store_short v[15:16], v2, off
.LBB7_1813:
	s_mov_b32 s5, 0
.LBB7_1814:
	s_and_b32 vcc_lo, exec_lo, s5
	s_mov_b32 s5, 0
	s_cbranch_vccz .LBB7_1816
; %bb.1815:
	s_cmp_lg_u32 s4, 11
	s_mov_b32 s5, -1
	s_cselect_b32 s0, -1, 0
.LBB7_1816:
	s_and_b32 vcc_lo, exec_lo, s0
	s_cbranch_vccnz .LBB7_2225
; %bb.1817:
	s_andn2_b32 vcc_lo, exec_lo, s5
	s_cbranch_vccnz .LBB7_1819
.LBB7_1818:
	v_cmp_neq_f64_e32 vcc_lo, 0, v[0:1]
	s_mov_b32 s6, -1
	v_cndmask_b32_e64 v2, 0, 1, vcc_lo
	global_store_byte v[15:16], v2, off
.LBB7_1819:
	s_mov_b32 s0, 0
	s_branch .LBB7_1866
.LBB7_1820:
	s_mov_b32 s0, 0
	s_mov_b32 s3, 0
                                        ; implicit-def: $vgpr0_vgpr1
                                        ; implicit-def: $sgpr6
                                        ; implicit-def: $vgpr12_vgpr13
.LBB7_1821:
	s_andn2_b32 s2, s12, exec_lo
	s_and_b32 s1, s1, exec_lo
	s_and_b32 s0, s0, exec_lo
	;; [unrolled: 1-line block ×3, first 2 shown]
	s_or_b32 s12, s2, s1
.LBB7_1822:
	s_or_b32 exec_lo, exec_lo, s13
	s_and_saveexec_b32 s1, s12
	s_cbranch_execz .LBB7_1825
; %bb.1823:
	; divergent unreachable
	s_or_b32 exec_lo, exec_lo, s1
	s_and_saveexec_b32 s1, s26
	s_xor_b32 s1, exec_lo, s1
	s_cbranch_execnz .LBB7_1826
.LBB7_1824:
	s_or_b32 exec_lo, exec_lo, s1
	s_and_saveexec_b32 s1, s0
	s_cbranch_execnz .LBB7_1827
	s_branch .LBB7_1864
.LBB7_1825:
	s_or_b32 exec_lo, exec_lo, s1
	s_and_saveexec_b32 s1, s26
	s_xor_b32 s1, exec_lo, s1
	s_cbranch_execz .LBB7_1824
.LBB7_1826:
	s_waitcnt vmcnt(0)
	v_cmp_neq_f64_e32 vcc_lo, 0, v[12:13]
	v_cndmask_b32_e64 v2, 0, 1, vcc_lo
	global_store_byte v[0:1], v2, off
	s_or_b32 exec_lo, exec_lo, s1
	s_and_saveexec_b32 s1, s0
	s_cbranch_execz .LBB7_1864
.LBB7_1827:
	s_sext_i32_i16 s1, s6
	s_mov_b32 s0, -1
	s_cmp_lt_i32 s1, 5
	s_cbranch_scc1 .LBB7_1848
; %bb.1828:
	s_cmp_lt_i32 s1, 8
	s_cbranch_scc1 .LBB7_1838
; %bb.1829:
	;; [unrolled: 3-line block ×3, first 2 shown]
	s_cmp_gt_i32 s1, 9
	s_cbranch_scc0 .LBB7_1832
; %bb.1831:
	v_mov_b32_e32 v14, 0
	s_mov_b32 s0, 0
	s_waitcnt vmcnt(0)
	v_mov_b32_e32 v15, v14
	global_store_dwordx4 v[0:1], v[12:15], off
.LBB7_1832:
	s_andn2_b32 vcc_lo, exec_lo, s0
	s_cbranch_vccnz .LBB7_1834
; %bb.1833:
	s_waitcnt vmcnt(0)
	v_cvt_f32_f64_e32 v2, v[12:13]
	v_mov_b32_e32 v3, 0
	global_store_dwordx2 v[0:1], v[2:3], off
.LBB7_1834:
	s_mov_b32 s0, 0
.LBB7_1835:
	s_andn2_b32 vcc_lo, exec_lo, s0
	s_cbranch_vccnz .LBB7_1837
; %bb.1836:
	s_waitcnt vmcnt(0)
	v_and_or_b32 v2, 0x1ff, v13, v12
	v_lshrrev_b32_e32 v3, 8, v13
	v_bfe_u32 v4, v13, 20, 11
	v_cmp_ne_u32_e32 vcc_lo, 0, v2
	v_sub_nc_u32_e32 v5, 0x3f1, v4
	v_add_nc_u32_e32 v4, 0xfffffc10, v4
	v_cndmask_b32_e64 v2, 0, 1, vcc_lo
	v_and_or_b32 v2, 0xffe, v3, v2
	v_med3_i32 v3, v5, 0, 13
	v_or_b32_e32 v5, 0x1000, v2
	v_lshrrev_b32_e32 v6, v3, v5
	v_lshlrev_b32_e32 v3, v3, v6
	v_cmp_ne_u32_e32 vcc_lo, v3, v5
	v_lshl_or_b32 v5, v4, 12, v2
	v_cndmask_b32_e64 v3, 0, 1, vcc_lo
	v_cmp_gt_i32_e32 vcc_lo, 1, v4
	v_or_b32_e32 v3, v6, v3
	v_cndmask_b32_e32 v3, v5, v3, vcc_lo
	v_and_b32_e32 v5, 7, v3
	v_lshrrev_b32_e32 v3, 2, v3
	v_cmp_lt_i32_e32 vcc_lo, 5, v5
	v_cndmask_b32_e64 v6, 0, 1, vcc_lo
	v_cmp_eq_u32_e32 vcc_lo, 3, v5
	v_cndmask_b32_e64 v5, 0, 1, vcc_lo
	v_cmp_ne_u32_e32 vcc_lo, 0, v2
	v_or_b32_e32 v5, v5, v6
	v_mov_b32_e32 v6, 0x7e00
	v_add_nc_u32_e32 v3, v3, v5
	v_cndmask_b32_e32 v2, 0x7c00, v6, vcc_lo
	v_cmp_gt_i32_e32 vcc_lo, 31, v4
	v_cndmask_b32_e32 v3, 0x7c00, v3, vcc_lo
	v_cmp_eq_u32_e32 vcc_lo, 0x40f, v4
	v_cndmask_b32_e32 v2, v3, v2, vcc_lo
	v_lshrrev_b32_e32 v3, 16, v13
	v_and_or_b32 v2, 0x8000, v3, v2
	v_and_b32_e32 v2, 0xffff, v2
	global_store_dword v[0:1], v2, off
.LBB7_1837:
	s_mov_b32 s0, 0
.LBB7_1838:
	s_andn2_b32 vcc_lo, exec_lo, s0
	s_cbranch_vccnz .LBB7_1847
; %bb.1839:
	s_sext_i32_i16 s1, s6
	s_mov_b32 s0, -1
	s_cmp_lt_i32 s1, 6
	s_cbranch_scc1 .LBB7_1845
; %bb.1840:
	s_cmp_gt_i32 s1, 6
	s_cbranch_scc0 .LBB7_1842
; %bb.1841:
	s_mov_b32 s0, 0
	s_waitcnt vmcnt(0)
	global_store_dwordx2 v[0:1], v[12:13], off
.LBB7_1842:
	s_andn2_b32 vcc_lo, exec_lo, s0
	s_cbranch_vccnz .LBB7_1844
; %bb.1843:
	s_waitcnt vmcnt(0)
	v_cvt_f32_f64_e32 v2, v[12:13]
	global_store_dword v[0:1], v2, off
.LBB7_1844:
	s_mov_b32 s0, 0
.LBB7_1845:
	s_andn2_b32 vcc_lo, exec_lo, s0
	s_cbranch_vccnz .LBB7_1847
; %bb.1846:
	s_waitcnt vmcnt(0)
	v_and_or_b32 v2, 0x1ff, v13, v12
	v_lshrrev_b32_e32 v3, 8, v13
	v_bfe_u32 v4, v13, 20, 11
	v_cmp_ne_u32_e32 vcc_lo, 0, v2
	v_sub_nc_u32_e32 v5, 0x3f1, v4
	v_add_nc_u32_e32 v4, 0xfffffc10, v4
	v_cndmask_b32_e64 v2, 0, 1, vcc_lo
	v_and_or_b32 v2, 0xffe, v3, v2
	v_med3_i32 v3, v5, 0, 13
	v_or_b32_e32 v5, 0x1000, v2
	v_lshrrev_b32_e32 v6, v3, v5
	v_lshlrev_b32_e32 v3, v3, v6
	v_cmp_ne_u32_e32 vcc_lo, v3, v5
	v_lshl_or_b32 v5, v4, 12, v2
	v_cndmask_b32_e64 v3, 0, 1, vcc_lo
	v_cmp_gt_i32_e32 vcc_lo, 1, v4
	v_or_b32_e32 v3, v6, v3
	v_cndmask_b32_e32 v3, v5, v3, vcc_lo
	v_and_b32_e32 v5, 7, v3
	v_lshrrev_b32_e32 v3, 2, v3
	v_cmp_lt_i32_e32 vcc_lo, 5, v5
	v_cndmask_b32_e64 v6, 0, 1, vcc_lo
	v_cmp_eq_u32_e32 vcc_lo, 3, v5
	v_cndmask_b32_e64 v5, 0, 1, vcc_lo
	v_cmp_ne_u32_e32 vcc_lo, 0, v2
	v_or_b32_e32 v5, v5, v6
	v_mov_b32_e32 v6, 0x7e00
	v_add_nc_u32_e32 v3, v3, v5
	v_cndmask_b32_e32 v2, 0x7c00, v6, vcc_lo
	v_cmp_gt_i32_e32 vcc_lo, 31, v4
	v_cndmask_b32_e32 v3, 0x7c00, v3, vcc_lo
	v_cmp_eq_u32_e32 vcc_lo, 0x40f, v4
	v_cndmask_b32_e32 v2, v3, v2, vcc_lo
	v_lshrrev_b32_e32 v3, 16, v13
	v_and_or_b32 v2, 0x8000, v3, v2
	global_store_short v[0:1], v2, off
.LBB7_1847:
	s_mov_b32 s0, 0
.LBB7_1848:
	s_andn2_b32 vcc_lo, exec_lo, s0
	s_cbranch_vccnz .LBB7_1864
; %bb.1849:
	s_sext_i32_i16 s1, s6
	s_mov_b32 s0, -1
	s_cmp_lt_i32 s1, 2
	s_cbranch_scc1 .LBB7_1859
; %bb.1850:
	s_cmp_lt_i32 s1, 3
	s_cbranch_scc1 .LBB7_1856
; %bb.1851:
	s_cmp_gt_i32 s1, 3
	s_cbranch_scc0 .LBB7_1853
; %bb.1852:
	s_waitcnt vmcnt(0)
	v_trunc_f64_e32 v[2:3], v[12:13]
	s_mov_b32 s0, 0
	v_ldexp_f64 v[4:5], v[2:3], 0xffffffe0
	v_floor_f64_e32 v[4:5], v[4:5]
	v_fma_f64 v[2:3], 0xc1f00000, v[4:5], v[2:3]
	v_cvt_i32_f64_e32 v4, v[4:5]
	v_cvt_u32_f64_e32 v3, v[2:3]
	global_store_dwordx2 v[0:1], v[3:4], off
.LBB7_1853:
	s_andn2_b32 vcc_lo, exec_lo, s0
	s_cbranch_vccnz .LBB7_1855
; %bb.1854:
	s_waitcnt vmcnt(0)
	v_cvt_i32_f64_e32 v2, v[12:13]
	global_store_dword v[0:1], v2, off
.LBB7_1855:
	s_mov_b32 s0, 0
.LBB7_1856:
	s_andn2_b32 vcc_lo, exec_lo, s0
	s_cbranch_vccnz .LBB7_1858
; %bb.1857:
	s_waitcnt vmcnt(0)
	v_cvt_i32_f64_e32 v2, v[12:13]
	global_store_short v[0:1], v2, off
.LBB7_1858:
	s_mov_b32 s0, 0
.LBB7_1859:
	s_andn2_b32 vcc_lo, exec_lo, s0
	s_cbranch_vccnz .LBB7_1864
; %bb.1860:
	s_sext_i32_i16 s0, s6
	s_cmp_gt_i32 s0, 0
	s_mov_b32 s0, -1
	s_cbranch_scc0 .LBB7_1862
; %bb.1861:
	s_waitcnt vmcnt(0)
	v_cvt_i32_f64_e32 v2, v[12:13]
	s_mov_b32 s0, 0
	global_store_byte v[0:1], v2, off
.LBB7_1862:
	s_andn2_b32 vcc_lo, exec_lo, s0
	s_cbranch_vccnz .LBB7_1864
; %bb.1863:
	s_waitcnt vmcnt(0)
	v_trunc_f64_e32 v[2:3], v[12:13]
	v_ldexp_f64 v[4:5], v[2:3], 0xffffffe0
	v_floor_f64_e32 v[4:5], v[4:5]
	v_fma_f64 v[2:3], 0xc1f00000, v[4:5], v[2:3]
	v_cvt_u32_f64_e32 v2, v[2:3]
	global_store_byte v[0:1], v2, off
	s_endpgm
.LBB7_1864:
	s_endpgm
.LBB7_1865:
	s_mov_b32 s0, -1
	s_mov_b32 s6, 0
.LBB7_1866:
	s_and_b32 vcc_lo, exec_lo, s0
	s_cbranch_vccz .LBB7_1905
; %bb.1867:
	s_and_b32 s0, 0xffff, s3
	s_mov_b32 s3, -1
	s_cmp_lt_i32 s0, 5
	s_cbranch_scc1 .LBB7_1888
; %bb.1868:
	s_cmp_lt_i32 s0, 8
	s_cbranch_scc1 .LBB7_1878
; %bb.1869:
	;; [unrolled: 3-line block ×3, first 2 shown]
	s_cmp_gt_i32 s0, 9
	s_cbranch_scc0 .LBB7_1872
; %bb.1871:
	v_mov_b32_e32 v2, 0
	s_mov_b32 s3, 0
	v_mov_b32_e32 v3, v2
	global_store_dwordx4 v[15:16], v[0:3], off
.LBB7_1872:
	s_andn2_b32 vcc_lo, exec_lo, s3
	s_cbranch_vccnz .LBB7_1874
; %bb.1873:
	v_cvt_f32_f64_e32 v2, v[0:1]
	v_mov_b32_e32 v3, 0
	global_store_dwordx2 v[15:16], v[2:3], off
.LBB7_1874:
	s_mov_b32 s3, 0
.LBB7_1875:
	s_andn2_b32 vcc_lo, exec_lo, s3
	s_cbranch_vccnz .LBB7_1877
; %bb.1876:
	v_and_or_b32 v2, 0x1ff, v1, v0
	v_lshrrev_b32_e32 v3, 8, v1
	v_bfe_u32 v7, v1, 20, 11
	v_cmp_ne_u32_e32 vcc_lo, 0, v2
	v_sub_nc_u32_e32 v11, 0x3f1, v7
	v_add_nc_u32_e32 v7, 0xfffffc10, v7
	v_cndmask_b32_e64 v2, 0, 1, vcc_lo
	v_and_or_b32 v2, 0xffe, v3, v2
	v_med3_i32 v3, v11, 0, 13
	v_or_b32_e32 v11, 0x1000, v2
	v_lshrrev_b32_e32 v17, v3, v11
	v_lshlrev_b32_e32 v3, v3, v17
	v_cmp_ne_u32_e32 vcc_lo, v3, v11
	v_lshl_or_b32 v11, v7, 12, v2
	v_cndmask_b32_e64 v3, 0, 1, vcc_lo
	v_cmp_gt_i32_e32 vcc_lo, 1, v7
	v_or_b32_e32 v3, v17, v3
	v_cndmask_b32_e32 v3, v11, v3, vcc_lo
	v_and_b32_e32 v11, 7, v3
	v_lshrrev_b32_e32 v3, 2, v3
	v_cmp_lt_i32_e32 vcc_lo, 5, v11
	v_cndmask_b32_e64 v17, 0, 1, vcc_lo
	v_cmp_eq_u32_e32 vcc_lo, 3, v11
	v_cndmask_b32_e64 v11, 0, 1, vcc_lo
	v_cmp_ne_u32_e32 vcc_lo, 0, v2
	v_or_b32_e32 v11, v11, v17
	v_mov_b32_e32 v17, 0x7e00
	v_add_nc_u32_e32 v3, v3, v11
	v_cndmask_b32_e32 v2, 0x7c00, v17, vcc_lo
	v_cmp_gt_i32_e32 vcc_lo, 31, v7
	v_cndmask_b32_e32 v3, 0x7c00, v3, vcc_lo
	v_cmp_eq_u32_e32 vcc_lo, 0x40f, v7
	v_cndmask_b32_e32 v2, v3, v2, vcc_lo
	v_lshrrev_b32_e32 v3, 16, v1
	v_and_or_b32 v2, 0x8000, v3, v2
	v_and_b32_e32 v2, 0xffff, v2
	global_store_dword v[15:16], v2, off
.LBB7_1877:
	s_mov_b32 s3, 0
.LBB7_1878:
	s_andn2_b32 vcc_lo, exec_lo, s3
	s_cbranch_vccnz .LBB7_1887
; %bb.1879:
	s_cmp_lt_i32 s0, 6
	s_mov_b32 s3, -1
	s_cbranch_scc1 .LBB7_1885
; %bb.1880:
	s_cmp_gt_i32 s0, 6
	s_cbranch_scc0 .LBB7_1882
; %bb.1881:
	s_mov_b32 s3, 0
	global_store_dwordx2 v[15:16], v[0:1], off
.LBB7_1882:
	s_andn2_b32 vcc_lo, exec_lo, s3
	s_cbranch_vccnz .LBB7_1884
; %bb.1883:
	v_cvt_f32_f64_e32 v2, v[0:1]
	global_store_dword v[15:16], v2, off
.LBB7_1884:
	s_mov_b32 s3, 0
.LBB7_1885:
	s_andn2_b32 vcc_lo, exec_lo, s3
	s_cbranch_vccnz .LBB7_1887
; %bb.1886:
	v_and_or_b32 v2, 0x1ff, v1, v0
	v_lshrrev_b32_e32 v3, 8, v1
	v_bfe_u32 v7, v1, 20, 11
	v_cmp_ne_u32_e32 vcc_lo, 0, v2
	v_sub_nc_u32_e32 v11, 0x3f1, v7
	v_add_nc_u32_e32 v7, 0xfffffc10, v7
	v_cndmask_b32_e64 v2, 0, 1, vcc_lo
	v_and_or_b32 v2, 0xffe, v3, v2
	v_med3_i32 v3, v11, 0, 13
	v_or_b32_e32 v11, 0x1000, v2
	v_lshrrev_b32_e32 v17, v3, v11
	v_lshlrev_b32_e32 v3, v3, v17
	v_cmp_ne_u32_e32 vcc_lo, v3, v11
	v_lshl_or_b32 v11, v7, 12, v2
	v_cndmask_b32_e64 v3, 0, 1, vcc_lo
	v_cmp_gt_i32_e32 vcc_lo, 1, v7
	v_or_b32_e32 v3, v17, v3
	v_cndmask_b32_e32 v3, v11, v3, vcc_lo
	v_and_b32_e32 v11, 7, v3
	v_lshrrev_b32_e32 v3, 2, v3
	v_cmp_lt_i32_e32 vcc_lo, 5, v11
	v_cndmask_b32_e64 v17, 0, 1, vcc_lo
	v_cmp_eq_u32_e32 vcc_lo, 3, v11
	v_cndmask_b32_e64 v11, 0, 1, vcc_lo
	v_cmp_ne_u32_e32 vcc_lo, 0, v2
	v_or_b32_e32 v11, v11, v17
	v_mov_b32_e32 v17, 0x7e00
	v_add_nc_u32_e32 v3, v3, v11
	v_cndmask_b32_e32 v2, 0x7c00, v17, vcc_lo
	v_cmp_gt_i32_e32 vcc_lo, 31, v7
	v_cndmask_b32_e32 v3, 0x7c00, v3, vcc_lo
	v_cmp_eq_u32_e32 vcc_lo, 0x40f, v7
	v_cndmask_b32_e32 v2, v3, v2, vcc_lo
	v_lshrrev_b32_e32 v3, 16, v1
	v_and_or_b32 v2, 0x8000, v3, v2
	global_store_short v[15:16], v2, off
.LBB7_1887:
	s_mov_b32 s3, 0
.LBB7_1888:
	s_andn2_b32 vcc_lo, exec_lo, s3
	s_cbranch_vccnz .LBB7_1904
; %bb.1889:
	s_cmp_lt_i32 s0, 2
	s_mov_b32 s3, -1
	s_cbranch_scc1 .LBB7_1899
; %bb.1890:
	s_cmp_lt_i32 s0, 3
	s_cbranch_scc1 .LBB7_1896
; %bb.1891:
	s_cmp_gt_i32 s0, 3
	s_cbranch_scc0 .LBB7_1893
; %bb.1892:
	v_trunc_f64_e32 v[2:3], v[0:1]
	s_mov_b32 s3, 0
	v_ldexp_f64 v[17:18], v[2:3], 0xffffffe0
	v_floor_f64_e32 v[17:18], v[17:18]
	v_fma_f64 v[2:3], 0xc1f00000, v[17:18], v[2:3]
	v_cvt_i32_f64_e32 v18, v[17:18]
	v_cvt_u32_f64_e32 v17, v[2:3]
	global_store_dwordx2 v[15:16], v[17:18], off
.LBB7_1893:
	s_andn2_b32 vcc_lo, exec_lo, s3
	s_cbranch_vccnz .LBB7_1895
; %bb.1894:
	v_cvt_i32_f64_e32 v2, v[0:1]
	global_store_dword v[15:16], v2, off
.LBB7_1895:
	s_mov_b32 s3, 0
.LBB7_1896:
	s_andn2_b32 vcc_lo, exec_lo, s3
	s_cbranch_vccnz .LBB7_1898
; %bb.1897:
	v_cvt_i32_f64_e32 v2, v[0:1]
	global_store_short v[15:16], v2, off
.LBB7_1898:
	s_mov_b32 s3, 0
.LBB7_1899:
	s_andn2_b32 vcc_lo, exec_lo, s3
	s_cbranch_vccnz .LBB7_1904
; %bb.1900:
	s_cmp_gt_i32 s0, 0
	s_mov_b32 s0, -1
	s_cbranch_scc0 .LBB7_1902
; %bb.1901:
	v_cvt_i32_f64_e32 v2, v[0:1]
	s_mov_b32 s0, 0
	global_store_byte v[15:16], v2, off
.LBB7_1902:
	s_andn2_b32 vcc_lo, exec_lo, s0
	s_cbranch_vccnz .LBB7_1904
; %bb.1903:
	v_trunc_f64_e32 v[0:1], v[0:1]
	v_ldexp_f64 v[2:3], v[0:1], 0xffffffe0
	v_floor_f64_e32 v[2:3], v[2:3]
	v_fma_f64 v[0:1], 0xc1f00000, v[2:3], v[0:1]
	v_cvt_u32_f64_e32 v0, v[0:1]
	global_store_byte v[15:16], v0, off
.LBB7_1904:
	s_mov_b32 s6, -1
.LBB7_1905:
	s_andn2_b32 vcc_lo, exec_lo, s6
	s_cbranch_vccnz .LBB7_2220
; %bb.1906:
	s_lshr_b32 s0, s2, 8
	s_and_b32 s6, s0, 0xff
	v_add_co_u32 v0, s0, s8, v6
	v_add_co_ci_u32_e64 v1, null, s9, 0, s0
	s_cmp_lt_i32 s6, 11
	s_cbranch_scc1 .LBB7_1984
; %bb.1907:
	s_and_b32 s2, 0xffff, s6
	s_mov_b32 s5, -1
	s_mov_b32 s3, 0
	s_cmp_gt_i32 s2, 25
	s_mov_b32 s4, 0
	s_mov_b32 s0, 0
	s_cbranch_scc0 .LBB7_1940
; %bb.1908:
	s_cmp_gt_i32 s2, 28
	s_cbranch_scc0 .LBB7_1923
; %bb.1909:
	s_cmp_gt_i32 s2, 43
	;; [unrolled: 3-line block ×3, first 2 shown]
	s_cbranch_scc0 .LBB7_1913
; %bb.1911:
	s_mov_b32 s0, -1
	s_mov_b32 s5, 0
	s_cmp_eq_u32 s2, 46
	s_cbranch_scc0 .LBB7_1913
; %bb.1912:
	v_cvt_f32_f64_e32 v2, v[4:5]
	s_mov_b32 s0, 0
	s_mov_b32 s4, -1
	v_bfe_u32 v3, v2, 16, 1
	v_cmp_o_f32_e32 vcc_lo, v2, v2
	v_add3_u32 v2, v2, v3, 0x7fff
	v_mov_b32_e32 v3, 0x7fc0
	v_cndmask_b32_sdwa v2, v3, v2, vcc_lo dst_sel:DWORD dst_unused:UNUSED_PAD src0_sel:DWORD src1_sel:WORD_1
	global_store_dword v[0:1], v2, off
.LBB7_1913:
	s_and_b32 vcc_lo, exec_lo, s5
	s_cbranch_vccz .LBB7_1918
; %bb.1914:
	s_cmp_eq_u32 s2, 44
	s_mov_b32 s0, -1
	s_cbranch_scc0 .LBB7_1918
; %bb.1915:
	v_cvt_f32_f64_e32 v2, v[4:5]
	v_mov_b32_e32 v3, 0xff
	s_mov_b32 s4, exec_lo
	v_bfe_u32 v6, v2, 23, 8
	v_cmpx_ne_u32_e32 0xff, v6
	s_cbranch_execz .LBB7_1917
; %bb.1916:
	v_and_b32_e32 v3, 0x400000, v2
	v_and_or_b32 v6, 0x3fffff, v2, v6
	v_lshrrev_b32_e32 v2, 23, v2
	v_cmp_ne_u32_e32 vcc_lo, 0, v3
	v_cmp_ne_u32_e64 s0, 0, v6
	s_and_b32 s0, vcc_lo, s0
	v_cndmask_b32_e64 v3, 0, 1, s0
	v_add_nc_u32_e32 v3, v2, v3
.LBB7_1917:
	s_or_b32 exec_lo, exec_lo, s4
	s_mov_b32 s0, 0
	s_mov_b32 s4, -1
	global_store_byte v[0:1], v3, off
.LBB7_1918:
	s_mov_b32 s5, 0
.LBB7_1919:
	s_and_b32 vcc_lo, exec_lo, s5
	s_cbranch_vccz .LBB7_1922
; %bb.1920:
	s_cmp_eq_u32 s2, 29
	s_mov_b32 s0, -1
	s_cbranch_scc0 .LBB7_1922
; %bb.1921:
	v_trunc_f64_e32 v[2:3], v[4:5]
	s_mov_b32 s0, 0
	s_mov_b32 s4, -1
	v_ldexp_f64 v[6:7], v[2:3], 0xffffffe0
	v_floor_f64_e32 v[6:7], v[6:7]
	v_fma_f64 v[2:3], 0xc1f00000, v[6:7], v[2:3]
	v_cvt_u32_f64_e32 v7, v[6:7]
	v_cvt_u32_f64_e32 v6, v[2:3]
	global_store_dwordx2 v[0:1], v[6:7], off
.LBB7_1922:
	s_mov_b32 s5, 0
.LBB7_1923:
	s_and_b32 vcc_lo, exec_lo, s5
	s_cbranch_vccz .LBB7_1939
; %bb.1924:
	s_cmp_lt_i32 s2, 27
	s_mov_b32 s4, -1
	s_cbranch_scc1 .LBB7_1930
; %bb.1925:
	s_cmp_gt_i32 s2, 27
	s_cbranch_scc0 .LBB7_1927
; %bb.1926:
	v_cvt_u32_f64_e32 v2, v[4:5]
	s_mov_b32 s4, 0
	global_store_dword v[0:1], v2, off
.LBB7_1927:
	s_andn2_b32 vcc_lo, exec_lo, s4
	s_cbranch_vccnz .LBB7_1929
; %bb.1928:
	v_cvt_u32_f64_e32 v2, v[4:5]
	global_store_short v[0:1], v2, off
.LBB7_1929:
	s_mov_b32 s4, 0
.LBB7_1930:
	s_andn2_b32 vcc_lo, exec_lo, s4
	s_cbranch_vccnz .LBB7_1938
; %bb.1931:
	v_cvt_f32_f64_e32 v2, v[4:5]
	v_mov_b32_e32 v6, 0x80
	s_mov_b32 s4, exec_lo
	v_and_b32_e32 v3, 0x7fffffff, v2
	v_cmpx_gt_u32_e32 0x43800000, v3
	s_cbranch_execz .LBB7_1937
; %bb.1932:
	v_cmp_lt_u32_e32 vcc_lo, 0x3bffffff, v3
	s_mov_b32 s5, 0
                                        ; implicit-def: $vgpr3
	s_and_saveexec_b32 s7, vcc_lo
	s_xor_b32 s7, exec_lo, s7
	s_cbranch_execz .LBB7_2228
; %bb.1933:
	v_bfe_u32 v3, v2, 20, 1
	s_mov_b32 s5, exec_lo
	v_add3_u32 v3, v2, v3, 0x487ffff
	v_lshrrev_b32_e32 v3, 20, v3
	s_andn2_saveexec_b32 s7, s7
	s_cbranch_execnz .LBB7_2229
.LBB7_1934:
	s_or_b32 exec_lo, exec_lo, s7
	v_mov_b32_e32 v6, 0
	s_and_saveexec_b32 s7, s5
.LBB7_1935:
	v_lshrrev_b32_e32 v2, 24, v2
	v_and_or_b32 v6, 0x80, v2, v3
.LBB7_1936:
	s_or_b32 exec_lo, exec_lo, s7
.LBB7_1937:
	s_or_b32 exec_lo, exec_lo, s4
	global_store_byte v[0:1], v6, off
.LBB7_1938:
	s_mov_b32 s4, -1
.LBB7_1939:
	s_mov_b32 s5, 0
.LBB7_1940:
	s_and_b32 vcc_lo, exec_lo, s5
	s_cbranch_vccz .LBB7_1980
; %bb.1941:
	s_cmp_gt_i32 s2, 22
	s_mov_b32 s3, -1
	s_cbranch_scc0 .LBB7_1973
; %bb.1942:
	s_cmp_lt_i32 s2, 24
	s_cbranch_scc1 .LBB7_1962
; %bb.1943:
	s_cmp_gt_i32 s2, 24
	s_cbranch_scc0 .LBB7_1951
; %bb.1944:
	v_cvt_f32_f64_e32 v2, v[4:5]
	v_mov_b32_e32 v6, 0x80
	s_mov_b32 s3, exec_lo
	v_and_b32_e32 v3, 0x7fffffff, v2
	v_cmpx_gt_u32_e32 0x47800000, v3
	s_cbranch_execz .LBB7_1950
; %bb.1945:
	v_cmp_lt_u32_e32 vcc_lo, 0x37ffffff, v3
	s_mov_b32 s4, 0
                                        ; implicit-def: $vgpr3
	s_and_saveexec_b32 s5, vcc_lo
	s_xor_b32 s5, exec_lo, s5
	s_cbranch_execz .LBB7_2231
; %bb.1946:
	v_bfe_u32 v3, v2, 21, 1
	s_mov_b32 s4, exec_lo
	v_add3_u32 v3, v2, v3, 0x88fffff
	v_lshrrev_b32_e32 v3, 21, v3
	s_andn2_saveexec_b32 s5, s5
	s_cbranch_execnz .LBB7_2232
.LBB7_1947:
	s_or_b32 exec_lo, exec_lo, s5
	v_mov_b32_e32 v6, 0
	s_and_saveexec_b32 s5, s4
.LBB7_1948:
	v_lshrrev_b32_e32 v2, 24, v2
	v_and_or_b32 v6, 0x80, v2, v3
.LBB7_1949:
	s_or_b32 exec_lo, exec_lo, s5
.LBB7_1950:
	s_or_b32 exec_lo, exec_lo, s3
	s_mov_b32 s3, 0
	global_store_byte v[0:1], v6, off
.LBB7_1951:
	s_and_b32 vcc_lo, exec_lo, s3
	s_cbranch_vccz .LBB7_1961
; %bb.1952:
	v_cvt_f32_f64_e32 v2, v[4:5]
	s_mov_b32 s3, exec_lo
                                        ; implicit-def: $vgpr3
	v_and_b32_e32 v6, 0x7fffffff, v2
	v_cmpx_gt_u32_e32 0x43f00000, v6
	s_xor_b32 s3, exec_lo, s3
	s_cbranch_execz .LBB7_1958
; %bb.1953:
	s_mov_b32 s4, exec_lo
                                        ; implicit-def: $vgpr3
	v_cmpx_lt_u32_e32 0x3c7fffff, v6
	s_xor_b32 s4, exec_lo, s4
; %bb.1954:
	v_bfe_u32 v3, v2, 20, 1
	v_add3_u32 v3, v2, v3, 0x407ffff
	v_and_b32_e32 v6, 0xff00000, v3
	v_lshrrev_b32_e32 v3, 20, v3
	v_cmp_ne_u32_e32 vcc_lo, 0x7f00000, v6
	v_cndmask_b32_e32 v3, 0x7e, v3, vcc_lo
; %bb.1955:
	s_andn2_saveexec_b32 s4, s4
; %bb.1956:
	v_add_f32_e64 v3, 0x46800000, |v2|
; %bb.1957:
	s_or_b32 exec_lo, exec_lo, s4
                                        ; implicit-def: $vgpr6
.LBB7_1958:
	s_andn2_saveexec_b32 s3, s3
; %bb.1959:
	v_mov_b32_e32 v3, 0x7f
	v_cmp_lt_u32_e32 vcc_lo, 0x7f800000, v6
	v_cndmask_b32_e32 v3, 0x7e, v3, vcc_lo
; %bb.1960:
	s_or_b32 exec_lo, exec_lo, s3
	v_lshrrev_b32_e32 v2, 24, v2
	v_and_or_b32 v2, 0x80, v2, v3
	global_store_byte v[0:1], v2, off
.LBB7_1961:
	s_mov_b32 s3, 0
.LBB7_1962:
	s_andn2_b32 vcc_lo, exec_lo, s3
	s_cbranch_vccnz .LBB7_1972
; %bb.1963:
	v_cvt_f32_f64_e32 v2, v[4:5]
	s_mov_b32 s3, exec_lo
                                        ; implicit-def: $vgpr3
	v_and_b32_e32 v6, 0x7fffffff, v2
	v_cmpx_gt_u32_e32 0x47800000, v6
	s_xor_b32 s3, exec_lo, s3
	s_cbranch_execz .LBB7_1969
; %bb.1964:
	s_mov_b32 s4, exec_lo
                                        ; implicit-def: $vgpr3
	v_cmpx_lt_u32_e32 0x387fffff, v6
	s_xor_b32 s4, exec_lo, s4
; %bb.1965:
	v_bfe_u32 v3, v2, 21, 1
	v_add3_u32 v3, v2, v3, 0x80fffff
	v_lshrrev_b32_e32 v3, 21, v3
; %bb.1966:
	s_andn2_saveexec_b32 s4, s4
; %bb.1967:
	v_add_f32_e64 v3, 0x43000000, |v2|
; %bb.1968:
	s_or_b32 exec_lo, exec_lo, s4
                                        ; implicit-def: $vgpr6
.LBB7_1969:
	s_andn2_saveexec_b32 s3, s3
; %bb.1970:
	v_mov_b32_e32 v3, 0x7f
	v_cmp_lt_u32_e32 vcc_lo, 0x7f800000, v6
	v_cndmask_b32_e32 v3, 0x7c, v3, vcc_lo
; %bb.1971:
	s_or_b32 exec_lo, exec_lo, s3
	v_lshrrev_b32_e32 v2, 24, v2
	v_and_or_b32 v2, 0x80, v2, v3
	global_store_byte v[0:1], v2, off
.LBB7_1972:
	s_mov_b32 s3, 0
	s_mov_b32 s4, -1
.LBB7_1973:
	s_andn2_b32 vcc_lo, exec_lo, s3
	s_mov_b32 s3, 0
	s_cbranch_vccnz .LBB7_1980
; %bb.1974:
	s_cmp_gt_i32 s2, 14
	s_mov_b32 s3, -1
	s_cbranch_scc0 .LBB7_1978
; %bb.1975:
	s_cmp_eq_u32 s2, 15
	s_mov_b32 s0, -1
	s_cbranch_scc0 .LBB7_1977
; %bb.1976:
	v_cvt_f32_f64_e32 v2, v[4:5]
	s_mov_b32 s0, 0
	s_mov_b32 s4, -1
	v_bfe_u32 v3, v2, 16, 1
	v_cmp_o_f32_e32 vcc_lo, v2, v2
	v_add3_u32 v2, v2, v3, 0x7fff
	v_mov_b32_e32 v3, 0x7fc0
	v_cndmask_b32_sdwa v2, v3, v2, vcc_lo dst_sel:DWORD dst_unused:UNUSED_PAD src0_sel:DWORD src1_sel:WORD_1
	global_store_short v[0:1], v2, off
.LBB7_1977:
	s_mov_b32 s3, 0
.LBB7_1978:
	s_and_b32 vcc_lo, exec_lo, s3
	s_mov_b32 s3, 0
	s_cbranch_vccz .LBB7_1980
; %bb.1979:
	s_cmp_lg_u32 s2, 11
	s_mov_b32 s3, -1
	s_cselect_b32 s0, -1, 0
.LBB7_1980:
	s_and_b32 vcc_lo, exec_lo, s0
	s_cbranch_vccnz .LBB7_2230
; %bb.1981:
	s_andn2_b32 vcc_lo, exec_lo, s3
	s_cbranch_vccnz .LBB7_1983
.LBB7_1982:
	v_cmp_neq_f64_e32 vcc_lo, 0, v[4:5]
	s_mov_b32 s4, -1
	v_cndmask_b32_e64 v2, 0, 1, vcc_lo
	global_store_byte v[0:1], v2, off
.LBB7_1983:
	s_mov_b32 s0, 0
	s_branch .LBB7_1985
.LBB7_1984:
	s_mov_b32 s0, -1
	s_mov_b32 s4, 0
.LBB7_1985:
	s_and_b32 vcc_lo, exec_lo, s0
	s_cbranch_vccz .LBB7_2024
; %bb.1986:
	s_and_b32 s0, 0xffff, s6
	s_mov_b32 s2, -1
	s_cmp_lt_i32 s0, 5
	s_cbranch_scc1 .LBB7_2007
; %bb.1987:
	s_cmp_lt_i32 s0, 8
	s_cbranch_scc1 .LBB7_1997
; %bb.1988:
	;; [unrolled: 3-line block ×3, first 2 shown]
	s_cmp_gt_i32 s0, 9
	s_cbranch_scc0 .LBB7_1991
; %bb.1990:
	v_mov_b32_e32 v6, 0
	s_mov_b32 s2, 0
	v_mov_b32_e32 v7, v6
	global_store_dwordx4 v[0:1], v[4:7], off
.LBB7_1991:
	s_andn2_b32 vcc_lo, exec_lo, s2
	s_cbranch_vccnz .LBB7_1993
; %bb.1992:
	v_cvt_f32_f64_e32 v2, v[4:5]
	v_mov_b32_e32 v3, 0
	global_store_dwordx2 v[0:1], v[2:3], off
.LBB7_1993:
	s_mov_b32 s2, 0
.LBB7_1994:
	s_andn2_b32 vcc_lo, exec_lo, s2
	s_cbranch_vccnz .LBB7_1996
; %bb.1995:
	v_and_or_b32 v2, 0x1ff, v5, v4
	v_lshrrev_b32_e32 v3, 8, v5
	v_bfe_u32 v6, v5, 20, 11
	v_cmp_ne_u32_e32 vcc_lo, 0, v2
	v_sub_nc_u32_e32 v7, 0x3f1, v6
	v_add_nc_u32_e32 v6, 0xfffffc10, v6
	v_cndmask_b32_e64 v2, 0, 1, vcc_lo
	v_and_or_b32 v2, 0xffe, v3, v2
	v_med3_i32 v3, v7, 0, 13
	v_or_b32_e32 v7, 0x1000, v2
	v_lshrrev_b32_e32 v11, v3, v7
	v_lshlrev_b32_e32 v3, v3, v11
	v_cmp_ne_u32_e32 vcc_lo, v3, v7
	v_lshl_or_b32 v7, v6, 12, v2
	v_cndmask_b32_e64 v3, 0, 1, vcc_lo
	v_cmp_gt_i32_e32 vcc_lo, 1, v6
	v_or_b32_e32 v3, v11, v3
	v_cndmask_b32_e32 v3, v7, v3, vcc_lo
	v_and_b32_e32 v7, 7, v3
	v_lshrrev_b32_e32 v3, 2, v3
	v_cmp_lt_i32_e32 vcc_lo, 5, v7
	v_cndmask_b32_e64 v11, 0, 1, vcc_lo
	v_cmp_eq_u32_e32 vcc_lo, 3, v7
	v_cndmask_b32_e64 v7, 0, 1, vcc_lo
	v_cmp_ne_u32_e32 vcc_lo, 0, v2
	v_or_b32_e32 v7, v7, v11
	v_mov_b32_e32 v11, 0x7e00
	v_add_nc_u32_e32 v3, v3, v7
	v_cndmask_b32_e32 v2, 0x7c00, v11, vcc_lo
	v_cmp_gt_i32_e32 vcc_lo, 31, v6
	v_cndmask_b32_e32 v3, 0x7c00, v3, vcc_lo
	v_cmp_eq_u32_e32 vcc_lo, 0x40f, v6
	v_cndmask_b32_e32 v2, v3, v2, vcc_lo
	v_lshrrev_b32_e32 v3, 16, v5
	v_and_or_b32 v2, 0x8000, v3, v2
	v_and_b32_e32 v2, 0xffff, v2
	global_store_dword v[0:1], v2, off
.LBB7_1996:
	s_mov_b32 s2, 0
.LBB7_1997:
	s_andn2_b32 vcc_lo, exec_lo, s2
	s_cbranch_vccnz .LBB7_2006
; %bb.1998:
	s_cmp_lt_i32 s0, 6
	s_mov_b32 s2, -1
	s_cbranch_scc1 .LBB7_2004
; %bb.1999:
	s_cmp_gt_i32 s0, 6
	s_cbranch_scc0 .LBB7_2001
; %bb.2000:
	s_mov_b32 s2, 0
	global_store_dwordx2 v[0:1], v[4:5], off
.LBB7_2001:
	s_andn2_b32 vcc_lo, exec_lo, s2
	s_cbranch_vccnz .LBB7_2003
; %bb.2002:
	v_cvt_f32_f64_e32 v2, v[4:5]
	global_store_dword v[0:1], v2, off
.LBB7_2003:
	s_mov_b32 s2, 0
.LBB7_2004:
	s_andn2_b32 vcc_lo, exec_lo, s2
	s_cbranch_vccnz .LBB7_2006
; %bb.2005:
	v_and_or_b32 v2, 0x1ff, v5, v4
	v_lshrrev_b32_e32 v3, 8, v5
	v_bfe_u32 v6, v5, 20, 11
	v_cmp_ne_u32_e32 vcc_lo, 0, v2
	v_sub_nc_u32_e32 v7, 0x3f1, v6
	v_add_nc_u32_e32 v6, 0xfffffc10, v6
	v_cndmask_b32_e64 v2, 0, 1, vcc_lo
	v_and_or_b32 v2, 0xffe, v3, v2
	v_med3_i32 v3, v7, 0, 13
	v_or_b32_e32 v7, 0x1000, v2
	v_lshrrev_b32_e32 v11, v3, v7
	v_lshlrev_b32_e32 v3, v3, v11
	v_cmp_ne_u32_e32 vcc_lo, v3, v7
	v_lshl_or_b32 v7, v6, 12, v2
	v_cndmask_b32_e64 v3, 0, 1, vcc_lo
	v_cmp_gt_i32_e32 vcc_lo, 1, v6
	v_or_b32_e32 v3, v11, v3
	v_cndmask_b32_e32 v3, v7, v3, vcc_lo
	v_and_b32_e32 v7, 7, v3
	v_lshrrev_b32_e32 v3, 2, v3
	v_cmp_lt_i32_e32 vcc_lo, 5, v7
	v_cndmask_b32_e64 v11, 0, 1, vcc_lo
	v_cmp_eq_u32_e32 vcc_lo, 3, v7
	v_cndmask_b32_e64 v7, 0, 1, vcc_lo
	v_cmp_ne_u32_e32 vcc_lo, 0, v2
	v_or_b32_e32 v7, v7, v11
	v_mov_b32_e32 v11, 0x7e00
	v_add_nc_u32_e32 v3, v3, v7
	v_cndmask_b32_e32 v2, 0x7c00, v11, vcc_lo
	v_cmp_gt_i32_e32 vcc_lo, 31, v6
	v_cndmask_b32_e32 v3, 0x7c00, v3, vcc_lo
	v_cmp_eq_u32_e32 vcc_lo, 0x40f, v6
	v_cndmask_b32_e32 v2, v3, v2, vcc_lo
	v_lshrrev_b32_e32 v3, 16, v5
	v_and_or_b32 v2, 0x8000, v3, v2
	global_store_short v[0:1], v2, off
.LBB7_2006:
	s_mov_b32 s2, 0
.LBB7_2007:
	s_andn2_b32 vcc_lo, exec_lo, s2
	s_cbranch_vccnz .LBB7_2023
; %bb.2008:
	s_cmp_lt_i32 s0, 2
	s_mov_b32 s2, -1
	s_cbranch_scc1 .LBB7_2018
; %bb.2009:
	s_cmp_lt_i32 s0, 3
	s_cbranch_scc1 .LBB7_2015
; %bb.2010:
	s_cmp_gt_i32 s0, 3
	s_cbranch_scc0 .LBB7_2012
; %bb.2011:
	v_trunc_f64_e32 v[2:3], v[4:5]
	s_mov_b32 s2, 0
	v_ldexp_f64 v[6:7], v[2:3], 0xffffffe0
	v_floor_f64_e32 v[6:7], v[6:7]
	v_fma_f64 v[2:3], 0xc1f00000, v[6:7], v[2:3]
	v_cvt_i32_f64_e32 v7, v[6:7]
	v_cvt_u32_f64_e32 v6, v[2:3]
	global_store_dwordx2 v[0:1], v[6:7], off
.LBB7_2012:
	s_andn2_b32 vcc_lo, exec_lo, s2
	s_cbranch_vccnz .LBB7_2014
; %bb.2013:
	v_cvt_i32_f64_e32 v2, v[4:5]
	global_store_dword v[0:1], v2, off
.LBB7_2014:
	s_mov_b32 s2, 0
.LBB7_2015:
	s_andn2_b32 vcc_lo, exec_lo, s2
	s_cbranch_vccnz .LBB7_2017
; %bb.2016:
	v_cvt_i32_f64_e32 v2, v[4:5]
	global_store_short v[0:1], v2, off
.LBB7_2017:
	s_mov_b32 s2, 0
.LBB7_2018:
	s_andn2_b32 vcc_lo, exec_lo, s2
	s_cbranch_vccnz .LBB7_2023
; %bb.2019:
	s_cmp_gt_i32 s0, 0
	s_mov_b32 s0, -1
	s_cbranch_scc0 .LBB7_2021
; %bb.2020:
	v_cvt_i32_f64_e32 v2, v[4:5]
	s_mov_b32 s0, 0
	global_store_byte v[0:1], v2, off
.LBB7_2021:
	s_andn2_b32 vcc_lo, exec_lo, s0
	s_cbranch_vccnz .LBB7_2023
; %bb.2022:
	v_trunc_f64_e32 v[2:3], v[4:5]
	v_ldexp_f64 v[4:5], v[2:3], 0xffffffe0
	v_floor_f64_e32 v[4:5], v[4:5]
	v_fma_f64 v[2:3], 0xc1f00000, v[4:5], v[2:3]
	v_cvt_u32_f64_e32 v2, v[2:3]
	global_store_byte v[0:1], v2, off
.LBB7_2023:
	s_mov_b32 s4, -1
.LBB7_2024:
	s_andn2_b32 vcc_lo, exec_lo, s4
	s_cbranch_vccnz .LBB7_2220
; %bb.2025:
	v_add_co_u32 v0, s0, s8, v10
	v_add_co_ci_u32_e64 v1, null, s9, 0, s0
	s_cmp_lt_i32 s6, 11
	s_cbranch_scc1 .LBB7_2103
; %bb.2026:
	s_and_b32 s2, 0xffff, s6
	s_mov_b32 s5, -1
	s_mov_b32 s3, 0
	s_cmp_gt_i32 s2, 25
	s_mov_b32 s4, 0
	s_mov_b32 s0, 0
	s_cbranch_scc0 .LBB7_2059
; %bb.2027:
	s_cmp_gt_i32 s2, 28
	s_cbranch_scc0 .LBB7_2042
; %bb.2028:
	s_cmp_gt_i32 s2, 43
	s_cbranch_scc0 .LBB7_2038
; %bb.2029:
	s_cmp_gt_i32 s2, 45
	s_cbranch_scc0 .LBB7_2032
; %bb.2030:
	s_mov_b32 s0, -1
	s_mov_b32 s5, 0
	s_cmp_eq_u32 s2, 46
	s_cbranch_scc0 .LBB7_2032
; %bb.2031:
	v_cvt_f32_f64_e32 v2, v[8:9]
	s_mov_b32 s0, 0
	s_mov_b32 s4, -1
	v_bfe_u32 v3, v2, 16, 1
	v_cmp_o_f32_e32 vcc_lo, v2, v2
	v_add3_u32 v2, v2, v3, 0x7fff
	v_mov_b32_e32 v3, 0x7fc0
	v_cndmask_b32_sdwa v2, v3, v2, vcc_lo dst_sel:DWORD dst_unused:UNUSED_PAD src0_sel:DWORD src1_sel:WORD_1
	global_store_dword v[0:1], v2, off
.LBB7_2032:
	s_and_b32 vcc_lo, exec_lo, s5
	s_cbranch_vccz .LBB7_2037
; %bb.2033:
	s_cmp_eq_u32 s2, 44
	s_mov_b32 s0, -1
	s_cbranch_scc0 .LBB7_2037
; %bb.2034:
	v_cvt_f32_f64_e32 v2, v[8:9]
	v_mov_b32_e32 v3, 0xff
	s_mov_b32 s4, exec_lo
	v_bfe_u32 v4, v2, 23, 8
	v_cmpx_ne_u32_e32 0xff, v4
	s_cbranch_execz .LBB7_2036
; %bb.2035:
	v_and_b32_e32 v3, 0x400000, v2
	v_and_or_b32 v4, 0x3fffff, v2, v4
	v_lshrrev_b32_e32 v2, 23, v2
	v_cmp_ne_u32_e32 vcc_lo, 0, v3
	v_cmp_ne_u32_e64 s0, 0, v4
	s_and_b32 s0, vcc_lo, s0
	v_cndmask_b32_e64 v3, 0, 1, s0
	v_add_nc_u32_e32 v3, v2, v3
.LBB7_2036:
	s_or_b32 exec_lo, exec_lo, s4
	s_mov_b32 s0, 0
	s_mov_b32 s4, -1
	global_store_byte v[0:1], v3, off
.LBB7_2037:
	s_mov_b32 s5, 0
.LBB7_2038:
	s_and_b32 vcc_lo, exec_lo, s5
	s_cbranch_vccz .LBB7_2041
; %bb.2039:
	s_cmp_eq_u32 s2, 29
	s_mov_b32 s0, -1
	s_cbranch_scc0 .LBB7_2041
; %bb.2040:
	v_trunc_f64_e32 v[2:3], v[8:9]
	s_mov_b32 s0, 0
	s_mov_b32 s4, -1
	v_ldexp_f64 v[4:5], v[2:3], 0xffffffe0
	v_floor_f64_e32 v[4:5], v[4:5]
	v_fma_f64 v[2:3], 0xc1f00000, v[4:5], v[2:3]
	v_cvt_u32_f64_e32 v4, v[4:5]
	v_cvt_u32_f64_e32 v3, v[2:3]
	global_store_dwordx2 v[0:1], v[3:4], off
.LBB7_2041:
	s_mov_b32 s5, 0
.LBB7_2042:
	s_and_b32 vcc_lo, exec_lo, s5
	s_cbranch_vccz .LBB7_2058
; %bb.2043:
	s_cmp_lt_i32 s2, 27
	s_mov_b32 s4, -1
	s_cbranch_scc1 .LBB7_2049
; %bb.2044:
	v_cvt_u32_f64_e32 v2, v[8:9]
	s_cmp_gt_i32 s2, 27
	s_cbranch_scc0 .LBB7_2046
; %bb.2045:
	s_mov_b32 s4, 0
	global_store_dword v[0:1], v2, off
.LBB7_2046:
	s_andn2_b32 vcc_lo, exec_lo, s4
	s_cbranch_vccnz .LBB7_2048
; %bb.2047:
	global_store_short v[0:1], v2, off
.LBB7_2048:
	s_mov_b32 s4, 0
.LBB7_2049:
	s_andn2_b32 vcc_lo, exec_lo, s4
	s_cbranch_vccnz .LBB7_2057
; %bb.2050:
	v_cvt_f32_f64_e32 v2, v[8:9]
	v_mov_b32_e32 v4, 0x80
	s_mov_b32 s4, exec_lo
	v_and_b32_e32 v3, 0x7fffffff, v2
	v_cmpx_gt_u32_e32 0x43800000, v3
	s_cbranch_execz .LBB7_2056
; %bb.2051:
	v_cmp_lt_u32_e32 vcc_lo, 0x3bffffff, v3
	s_mov_b32 s5, 0
                                        ; implicit-def: $vgpr3
	s_and_saveexec_b32 s7, vcc_lo
	s_xor_b32 s7, exec_lo, s7
	s_cbranch_execz .LBB7_2233
; %bb.2052:
	v_bfe_u32 v3, v2, 20, 1
	s_mov_b32 s5, exec_lo
	v_add3_u32 v3, v2, v3, 0x487ffff
	v_lshrrev_b32_e32 v3, 20, v3
	s_andn2_saveexec_b32 s7, s7
	s_cbranch_execnz .LBB7_2234
.LBB7_2053:
	s_or_b32 exec_lo, exec_lo, s7
	v_mov_b32_e32 v4, 0
	s_and_saveexec_b32 s7, s5
.LBB7_2054:
	v_lshrrev_b32_e32 v2, 24, v2
	v_and_or_b32 v4, 0x80, v2, v3
.LBB7_2055:
	s_or_b32 exec_lo, exec_lo, s7
.LBB7_2056:
	s_or_b32 exec_lo, exec_lo, s4
	global_store_byte v[0:1], v4, off
.LBB7_2057:
	s_mov_b32 s4, -1
.LBB7_2058:
	s_mov_b32 s5, 0
.LBB7_2059:
	s_and_b32 vcc_lo, exec_lo, s5
	s_cbranch_vccz .LBB7_2099
; %bb.2060:
	s_cmp_gt_i32 s2, 22
	s_mov_b32 s3, -1
	s_cbranch_scc0 .LBB7_2092
; %bb.2061:
	s_cmp_lt_i32 s2, 24
	s_cbranch_scc1 .LBB7_2081
; %bb.2062:
	s_cmp_gt_i32 s2, 24
	s_cbranch_scc0 .LBB7_2070
; %bb.2063:
	v_cvt_f32_f64_e32 v2, v[8:9]
	v_mov_b32_e32 v4, 0x80
	s_mov_b32 s3, exec_lo
	v_and_b32_e32 v3, 0x7fffffff, v2
	v_cmpx_gt_u32_e32 0x47800000, v3
	s_cbranch_execz .LBB7_2069
; %bb.2064:
	v_cmp_lt_u32_e32 vcc_lo, 0x37ffffff, v3
	s_mov_b32 s4, 0
                                        ; implicit-def: $vgpr3
	s_and_saveexec_b32 s5, vcc_lo
	s_xor_b32 s5, exec_lo, s5
	s_cbranch_execz .LBB7_2236
; %bb.2065:
	v_bfe_u32 v3, v2, 21, 1
	s_mov_b32 s4, exec_lo
	v_add3_u32 v3, v2, v3, 0x88fffff
	v_lshrrev_b32_e32 v3, 21, v3
	s_andn2_saveexec_b32 s5, s5
	s_cbranch_execnz .LBB7_2237
.LBB7_2066:
	s_or_b32 exec_lo, exec_lo, s5
	v_mov_b32_e32 v4, 0
	s_and_saveexec_b32 s5, s4
.LBB7_2067:
	v_lshrrev_b32_e32 v2, 24, v2
	v_and_or_b32 v4, 0x80, v2, v3
.LBB7_2068:
	s_or_b32 exec_lo, exec_lo, s5
.LBB7_2069:
	s_or_b32 exec_lo, exec_lo, s3
	s_mov_b32 s3, 0
	global_store_byte v[0:1], v4, off
.LBB7_2070:
	s_and_b32 vcc_lo, exec_lo, s3
	s_cbranch_vccz .LBB7_2080
; %bb.2071:
	v_cvt_f32_f64_e32 v2, v[8:9]
	s_mov_b32 s3, exec_lo
                                        ; implicit-def: $vgpr3
	v_and_b32_e32 v4, 0x7fffffff, v2
	v_cmpx_gt_u32_e32 0x43f00000, v4
	s_xor_b32 s3, exec_lo, s3
	s_cbranch_execz .LBB7_2077
; %bb.2072:
	s_mov_b32 s4, exec_lo
                                        ; implicit-def: $vgpr3
	v_cmpx_lt_u32_e32 0x3c7fffff, v4
	s_xor_b32 s4, exec_lo, s4
; %bb.2073:
	v_bfe_u32 v3, v2, 20, 1
	v_add3_u32 v3, v2, v3, 0x407ffff
	v_and_b32_e32 v4, 0xff00000, v3
	v_lshrrev_b32_e32 v3, 20, v3
	v_cmp_ne_u32_e32 vcc_lo, 0x7f00000, v4
	v_cndmask_b32_e32 v3, 0x7e, v3, vcc_lo
; %bb.2074:
	s_andn2_saveexec_b32 s4, s4
; %bb.2075:
	v_add_f32_e64 v3, 0x46800000, |v2|
; %bb.2076:
	s_or_b32 exec_lo, exec_lo, s4
                                        ; implicit-def: $vgpr4
.LBB7_2077:
	s_andn2_saveexec_b32 s3, s3
; %bb.2078:
	v_mov_b32_e32 v3, 0x7f
	v_cmp_lt_u32_e32 vcc_lo, 0x7f800000, v4
	v_cndmask_b32_e32 v3, 0x7e, v3, vcc_lo
; %bb.2079:
	s_or_b32 exec_lo, exec_lo, s3
	v_lshrrev_b32_e32 v2, 24, v2
	v_and_or_b32 v2, 0x80, v2, v3
	global_store_byte v[0:1], v2, off
.LBB7_2080:
	s_mov_b32 s3, 0
.LBB7_2081:
	s_andn2_b32 vcc_lo, exec_lo, s3
	s_cbranch_vccnz .LBB7_2091
; %bb.2082:
	v_cvt_f32_f64_e32 v2, v[8:9]
	s_mov_b32 s3, exec_lo
                                        ; implicit-def: $vgpr3
	v_and_b32_e32 v4, 0x7fffffff, v2
	v_cmpx_gt_u32_e32 0x47800000, v4
	s_xor_b32 s3, exec_lo, s3
	s_cbranch_execz .LBB7_2088
; %bb.2083:
	s_mov_b32 s4, exec_lo
                                        ; implicit-def: $vgpr3
	v_cmpx_lt_u32_e32 0x387fffff, v4
	s_xor_b32 s4, exec_lo, s4
; %bb.2084:
	v_bfe_u32 v3, v2, 21, 1
	v_add3_u32 v3, v2, v3, 0x80fffff
	v_lshrrev_b32_e32 v3, 21, v3
; %bb.2085:
	s_andn2_saveexec_b32 s4, s4
; %bb.2086:
	v_add_f32_e64 v3, 0x43000000, |v2|
; %bb.2087:
	s_or_b32 exec_lo, exec_lo, s4
                                        ; implicit-def: $vgpr4
.LBB7_2088:
	s_andn2_saveexec_b32 s3, s3
; %bb.2089:
	v_mov_b32_e32 v3, 0x7f
	v_cmp_lt_u32_e32 vcc_lo, 0x7f800000, v4
	v_cndmask_b32_e32 v3, 0x7c, v3, vcc_lo
; %bb.2090:
	s_or_b32 exec_lo, exec_lo, s3
	v_lshrrev_b32_e32 v2, 24, v2
	v_and_or_b32 v2, 0x80, v2, v3
	global_store_byte v[0:1], v2, off
.LBB7_2091:
	s_mov_b32 s3, 0
	s_mov_b32 s4, -1
.LBB7_2092:
	s_andn2_b32 vcc_lo, exec_lo, s3
	s_mov_b32 s3, 0
	s_cbranch_vccnz .LBB7_2099
; %bb.2093:
	s_cmp_gt_i32 s2, 14
	s_mov_b32 s3, -1
	s_cbranch_scc0 .LBB7_2097
; %bb.2094:
	s_cmp_eq_u32 s2, 15
	s_mov_b32 s0, -1
	s_cbranch_scc0 .LBB7_2096
; %bb.2095:
	v_cvt_f32_f64_e32 v2, v[8:9]
	s_mov_b32 s0, 0
	s_mov_b32 s4, -1
	v_bfe_u32 v3, v2, 16, 1
	v_cmp_o_f32_e32 vcc_lo, v2, v2
	v_add3_u32 v2, v2, v3, 0x7fff
	v_mov_b32_e32 v3, 0x7fc0
	v_cndmask_b32_sdwa v2, v3, v2, vcc_lo dst_sel:DWORD dst_unused:UNUSED_PAD src0_sel:DWORD src1_sel:WORD_1
	global_store_short v[0:1], v2, off
.LBB7_2096:
	s_mov_b32 s3, 0
.LBB7_2097:
	s_and_b32 vcc_lo, exec_lo, s3
	s_mov_b32 s3, 0
	s_cbranch_vccz .LBB7_2099
; %bb.2098:
	s_cmp_lg_u32 s2, 11
	s_mov_b32 s3, -1
	s_cselect_b32 s0, -1, 0
.LBB7_2099:
	s_and_b32 vcc_lo, exec_lo, s0
	s_cbranch_vccnz .LBB7_2235
; %bb.2100:
	s_andn2_b32 vcc_lo, exec_lo, s3
	s_cbranch_vccnz .LBB7_2102
.LBB7_2101:
	v_cmp_neq_f64_e32 vcc_lo, 0, v[8:9]
	s_mov_b32 s4, -1
	v_cndmask_b32_e64 v2, 0, 1, vcc_lo
	global_store_byte v[0:1], v2, off
.LBB7_2102:
	s_mov_b32 s0, 0
	s_branch .LBB7_2104
.LBB7_2103:
	s_mov_b32 s0, -1
	s_mov_b32 s4, 0
.LBB7_2104:
	s_and_b32 vcc_lo, exec_lo, s0
	s_cbranch_vccz .LBB7_2143
; %bb.2105:
	s_and_b32 s0, 0xffff, s6
	s_mov_b32 s2, -1
	s_cmp_lt_i32 s0, 5
	s_cbranch_scc1 .LBB7_2126
; %bb.2106:
	s_cmp_lt_i32 s0, 8
	s_cbranch_scc1 .LBB7_2116
; %bb.2107:
	;; [unrolled: 3-line block ×3, first 2 shown]
	s_cmp_gt_i32 s0, 9
	s_cbranch_scc0 .LBB7_2110
; %bb.2109:
	v_mov_b32_e32 v10, 0
	s_mov_b32 s2, 0
	v_mov_b32_e32 v11, v10
	global_store_dwordx4 v[0:1], v[8:11], off
.LBB7_2110:
	s_andn2_b32 vcc_lo, exec_lo, s2
	s_cbranch_vccnz .LBB7_2112
; %bb.2111:
	v_cvt_f32_f64_e32 v2, v[8:9]
	v_mov_b32_e32 v3, 0
	global_store_dwordx2 v[0:1], v[2:3], off
.LBB7_2112:
	s_mov_b32 s2, 0
.LBB7_2113:
	s_andn2_b32 vcc_lo, exec_lo, s2
	s_cbranch_vccnz .LBB7_2115
; %bb.2114:
	v_and_or_b32 v2, 0x1ff, v9, v8
	v_lshrrev_b32_e32 v3, 8, v9
	v_bfe_u32 v4, v9, 20, 11
	v_cmp_ne_u32_e32 vcc_lo, 0, v2
	v_sub_nc_u32_e32 v5, 0x3f1, v4
	v_add_nc_u32_e32 v4, 0xfffffc10, v4
	v_cndmask_b32_e64 v2, 0, 1, vcc_lo
	v_and_or_b32 v2, 0xffe, v3, v2
	v_med3_i32 v3, v5, 0, 13
	v_or_b32_e32 v5, 0x1000, v2
	v_lshrrev_b32_e32 v6, v3, v5
	v_lshlrev_b32_e32 v3, v3, v6
	v_cmp_ne_u32_e32 vcc_lo, v3, v5
	v_lshl_or_b32 v5, v4, 12, v2
	v_cndmask_b32_e64 v3, 0, 1, vcc_lo
	v_cmp_gt_i32_e32 vcc_lo, 1, v4
	v_or_b32_e32 v3, v6, v3
	v_cndmask_b32_e32 v3, v5, v3, vcc_lo
	v_and_b32_e32 v5, 7, v3
	v_lshrrev_b32_e32 v3, 2, v3
	v_cmp_lt_i32_e32 vcc_lo, 5, v5
	v_cndmask_b32_e64 v6, 0, 1, vcc_lo
	v_cmp_eq_u32_e32 vcc_lo, 3, v5
	v_cndmask_b32_e64 v5, 0, 1, vcc_lo
	v_cmp_ne_u32_e32 vcc_lo, 0, v2
	v_or_b32_e32 v5, v5, v6
	v_mov_b32_e32 v6, 0x7e00
	v_add_nc_u32_e32 v3, v3, v5
	v_cndmask_b32_e32 v2, 0x7c00, v6, vcc_lo
	v_cmp_gt_i32_e32 vcc_lo, 31, v4
	v_cndmask_b32_e32 v3, 0x7c00, v3, vcc_lo
	v_cmp_eq_u32_e32 vcc_lo, 0x40f, v4
	v_cndmask_b32_e32 v2, v3, v2, vcc_lo
	v_lshrrev_b32_e32 v3, 16, v9
	v_and_or_b32 v2, 0x8000, v3, v2
	v_and_b32_e32 v2, 0xffff, v2
	global_store_dword v[0:1], v2, off
.LBB7_2115:
	s_mov_b32 s2, 0
.LBB7_2116:
	s_andn2_b32 vcc_lo, exec_lo, s2
	s_cbranch_vccnz .LBB7_2125
; %bb.2117:
	s_cmp_lt_i32 s0, 6
	s_mov_b32 s2, -1
	s_cbranch_scc1 .LBB7_2123
; %bb.2118:
	s_cmp_gt_i32 s0, 6
	s_cbranch_scc0 .LBB7_2120
; %bb.2119:
	s_mov_b32 s2, 0
	global_store_dwordx2 v[0:1], v[8:9], off
.LBB7_2120:
	s_andn2_b32 vcc_lo, exec_lo, s2
	s_cbranch_vccnz .LBB7_2122
; %bb.2121:
	v_cvt_f32_f64_e32 v2, v[8:9]
	global_store_dword v[0:1], v2, off
.LBB7_2122:
	s_mov_b32 s2, 0
.LBB7_2123:
	s_andn2_b32 vcc_lo, exec_lo, s2
	s_cbranch_vccnz .LBB7_2125
; %bb.2124:
	v_and_or_b32 v2, 0x1ff, v9, v8
	v_lshrrev_b32_e32 v3, 8, v9
	v_bfe_u32 v4, v9, 20, 11
	v_cmp_ne_u32_e32 vcc_lo, 0, v2
	v_sub_nc_u32_e32 v5, 0x3f1, v4
	v_add_nc_u32_e32 v4, 0xfffffc10, v4
	v_cndmask_b32_e64 v2, 0, 1, vcc_lo
	v_and_or_b32 v2, 0xffe, v3, v2
	v_med3_i32 v3, v5, 0, 13
	v_or_b32_e32 v5, 0x1000, v2
	v_lshrrev_b32_e32 v6, v3, v5
	v_lshlrev_b32_e32 v3, v3, v6
	v_cmp_ne_u32_e32 vcc_lo, v3, v5
	v_lshl_or_b32 v5, v4, 12, v2
	v_cndmask_b32_e64 v3, 0, 1, vcc_lo
	v_cmp_gt_i32_e32 vcc_lo, 1, v4
	v_or_b32_e32 v3, v6, v3
	v_cndmask_b32_e32 v3, v5, v3, vcc_lo
	v_and_b32_e32 v5, 7, v3
	v_lshrrev_b32_e32 v3, 2, v3
	v_cmp_lt_i32_e32 vcc_lo, 5, v5
	v_cndmask_b32_e64 v6, 0, 1, vcc_lo
	v_cmp_eq_u32_e32 vcc_lo, 3, v5
	v_cndmask_b32_e64 v5, 0, 1, vcc_lo
	v_cmp_ne_u32_e32 vcc_lo, 0, v2
	v_or_b32_e32 v5, v5, v6
	v_mov_b32_e32 v6, 0x7e00
	v_add_nc_u32_e32 v3, v3, v5
	v_cndmask_b32_e32 v2, 0x7c00, v6, vcc_lo
	v_cmp_gt_i32_e32 vcc_lo, 31, v4
	v_cndmask_b32_e32 v3, 0x7c00, v3, vcc_lo
	v_cmp_eq_u32_e32 vcc_lo, 0x40f, v4
	v_cndmask_b32_e32 v2, v3, v2, vcc_lo
	v_lshrrev_b32_e32 v3, 16, v9
	v_and_or_b32 v2, 0x8000, v3, v2
	global_store_short v[0:1], v2, off
.LBB7_2125:
	s_mov_b32 s2, 0
.LBB7_2126:
	s_andn2_b32 vcc_lo, exec_lo, s2
	s_cbranch_vccnz .LBB7_2142
; %bb.2127:
	s_cmp_lt_i32 s0, 2
	s_mov_b32 s2, -1
	s_cbranch_scc1 .LBB7_2137
; %bb.2128:
	s_cmp_lt_i32 s0, 3
	s_cbranch_scc1 .LBB7_2134
; %bb.2129:
	s_cmp_gt_i32 s0, 3
	s_cbranch_scc0 .LBB7_2131
; %bb.2130:
	v_trunc_f64_e32 v[2:3], v[8:9]
	s_mov_b32 s2, 0
	v_ldexp_f64 v[4:5], v[2:3], 0xffffffe0
	v_floor_f64_e32 v[4:5], v[4:5]
	v_fma_f64 v[2:3], 0xc1f00000, v[4:5], v[2:3]
	v_cvt_i32_f64_e32 v4, v[4:5]
	v_cvt_u32_f64_e32 v3, v[2:3]
	global_store_dwordx2 v[0:1], v[3:4], off
.LBB7_2131:
	s_andn2_b32 vcc_lo, exec_lo, s2
	s_cbranch_vccnz .LBB7_2133
; %bb.2132:
	v_cvt_i32_f64_e32 v2, v[8:9]
	global_store_dword v[0:1], v2, off
.LBB7_2133:
	s_mov_b32 s2, 0
.LBB7_2134:
	s_andn2_b32 vcc_lo, exec_lo, s2
	s_cbranch_vccnz .LBB7_2136
; %bb.2135:
	v_cvt_i32_f64_e32 v2, v[8:9]
	global_store_short v[0:1], v2, off
.LBB7_2136:
	s_mov_b32 s2, 0
.LBB7_2137:
	s_andn2_b32 vcc_lo, exec_lo, s2
	s_cbranch_vccnz .LBB7_2142
; %bb.2138:
	s_cmp_gt_i32 s0, 0
	s_mov_b32 s0, -1
	s_cbranch_scc0 .LBB7_2140
; %bb.2139:
	v_cvt_i32_f64_e32 v2, v[8:9]
	s_mov_b32 s0, 0
	global_store_byte v[0:1], v2, off
.LBB7_2140:
	s_andn2_b32 vcc_lo, exec_lo, s0
	s_cbranch_vccnz .LBB7_2142
; %bb.2141:
	v_trunc_f64_e32 v[2:3], v[8:9]
	v_ldexp_f64 v[4:5], v[2:3], 0xffffffe0
	v_floor_f64_e32 v[4:5], v[4:5]
	v_fma_f64 v[2:3], 0xc1f00000, v[4:5], v[2:3]
	v_cvt_u32_f64_e32 v2, v[2:3]
	global_store_byte v[0:1], v2, off
.LBB7_2142:
	s_mov_b32 s4, -1
.LBB7_2143:
	s_andn2_b32 vcc_lo, exec_lo, s4
	s_cbranch_vccnz .LBB7_2220
; %bb.2144:
	v_add_co_u32 v0, s0, s8, v14
	v_add_co_ci_u32_e64 v1, null, s9, 0, s0
	s_cmp_lt_i32 s6, 11
	s_cbranch_scc1 .LBB7_2221
; %bb.2145:
	s_and_b32 s2, 0xffff, s6
	s_mov_b32 s4, -1
	s_mov_b32 s3, 0
	s_cmp_gt_i32 s2, 25
	s_mov_b32 s0, 0
	s_cbranch_scc0 .LBB7_2178
; %bb.2146:
	s_cmp_gt_i32 s2, 28
	s_cbranch_scc0 .LBB7_2162
; %bb.2147:
	s_cmp_gt_i32 s2, 43
	;; [unrolled: 3-line block ×3, first 2 shown]
	s_cbranch_scc0 .LBB7_2152
; %bb.2149:
	s_cmp_eq_u32 s2, 46
	s_mov_b32 s0, -1
	s_cbranch_scc0 .LBB7_2151
; %bb.2150:
	v_cvt_f32_f64_e32 v2, v[12:13]
	s_mov_b32 s0, 0
	v_bfe_u32 v3, v2, 16, 1
	v_cmp_o_f32_e32 vcc_lo, v2, v2
	v_add3_u32 v2, v2, v3, 0x7fff
	v_mov_b32_e32 v3, 0x7fc0
	v_cndmask_b32_sdwa v2, v3, v2, vcc_lo dst_sel:DWORD dst_unused:UNUSED_PAD src0_sel:DWORD src1_sel:WORD_1
	global_store_dword v[0:1], v2, off
.LBB7_2151:
	s_mov_b32 s4, 0
.LBB7_2152:
	s_and_b32 vcc_lo, exec_lo, s4
	s_cbranch_vccz .LBB7_2157
; %bb.2153:
	s_cmp_eq_u32 s2, 44
	s_mov_b32 s0, -1
	s_cbranch_scc0 .LBB7_2157
; %bb.2154:
	v_cvt_f32_f64_e32 v2, v[12:13]
	v_mov_b32_e32 v3, 0xff
	s_mov_b32 s4, exec_lo
	v_bfe_u32 v4, v2, 23, 8
	v_cmpx_ne_u32_e32 0xff, v4
	s_cbranch_execz .LBB7_2156
; %bb.2155:
	v_and_b32_e32 v3, 0x400000, v2
	v_and_or_b32 v4, 0x3fffff, v2, v4
	v_lshrrev_b32_e32 v2, 23, v2
	v_cmp_ne_u32_e32 vcc_lo, 0, v3
	v_cmp_ne_u32_e64 s0, 0, v4
	s_and_b32 s0, vcc_lo, s0
	v_cndmask_b32_e64 v3, 0, 1, s0
	v_add_nc_u32_e32 v3, v2, v3
.LBB7_2156:
	s_or_b32 exec_lo, exec_lo, s4
	s_mov_b32 s0, 0
	global_store_byte v[0:1], v3, off
.LBB7_2157:
	s_mov_b32 s4, 0
.LBB7_2158:
	s_and_b32 vcc_lo, exec_lo, s4
	s_cbranch_vccz .LBB7_2161
; %bb.2159:
	s_cmp_eq_u32 s2, 29
	s_mov_b32 s0, -1
	s_cbranch_scc0 .LBB7_2161
; %bb.2160:
	v_trunc_f64_e32 v[2:3], v[12:13]
	s_mov_b32 s0, 0
	v_ldexp_f64 v[4:5], v[2:3], 0xffffffe0
	v_floor_f64_e32 v[4:5], v[4:5]
	v_fma_f64 v[2:3], 0xc1f00000, v[4:5], v[2:3]
	v_cvt_u32_f64_e32 v4, v[4:5]
	v_cvt_u32_f64_e32 v3, v[2:3]
	global_store_dwordx2 v[0:1], v[3:4], off
.LBB7_2161:
	s_mov_b32 s4, 0
.LBB7_2162:
	s_and_b32 vcc_lo, exec_lo, s4
	s_cbranch_vccz .LBB7_2177
; %bb.2163:
	s_cmp_lt_i32 s2, 27
	s_mov_b32 s4, -1
	s_cbranch_scc1 .LBB7_2169
; %bb.2164:
	s_cmp_gt_i32 s2, 27
	s_cbranch_scc0 .LBB7_2166
; %bb.2165:
	v_cvt_u32_f64_e32 v2, v[12:13]
	s_mov_b32 s4, 0
	global_store_dword v[0:1], v2, off
.LBB7_2166:
	s_andn2_b32 vcc_lo, exec_lo, s4
	s_cbranch_vccnz .LBB7_2168
; %bb.2167:
	v_cvt_u32_f64_e32 v2, v[12:13]
	global_store_short v[0:1], v2, off
.LBB7_2168:
	s_mov_b32 s4, 0
.LBB7_2169:
	s_andn2_b32 vcc_lo, exec_lo, s4
	s_cbranch_vccnz .LBB7_2177
; %bb.2170:
	v_cvt_f32_f64_e32 v2, v[12:13]
	v_mov_b32_e32 v4, 0x80
	s_mov_b32 s4, exec_lo
	v_and_b32_e32 v3, 0x7fffffff, v2
	v_cmpx_gt_u32_e32 0x43800000, v3
	s_cbranch_execz .LBB7_2176
; %bb.2171:
	v_cmp_lt_u32_e32 vcc_lo, 0x3bffffff, v3
	s_mov_b32 s5, 0
                                        ; implicit-def: $vgpr3
	s_and_saveexec_b32 s7, vcc_lo
	s_xor_b32 s7, exec_lo, s7
	s_cbranch_execz .LBB7_2238
; %bb.2172:
	v_bfe_u32 v3, v2, 20, 1
	s_mov_b32 s5, exec_lo
	v_add3_u32 v3, v2, v3, 0x487ffff
	v_lshrrev_b32_e32 v3, 20, v3
	s_andn2_saveexec_b32 s7, s7
	s_cbranch_execnz .LBB7_2239
.LBB7_2173:
	s_or_b32 exec_lo, exec_lo, s7
	v_mov_b32_e32 v4, 0
	s_and_saveexec_b32 s7, s5
.LBB7_2174:
	v_lshrrev_b32_e32 v2, 24, v2
	v_and_or_b32 v4, 0x80, v2, v3
.LBB7_2175:
	s_or_b32 exec_lo, exec_lo, s7
.LBB7_2176:
	s_or_b32 exec_lo, exec_lo, s4
	global_store_byte v[0:1], v4, off
.LBB7_2177:
	s_mov_b32 s4, 0
.LBB7_2178:
	s_and_b32 vcc_lo, exec_lo, s4
	s_cbranch_vccz .LBB7_2218
; %bb.2179:
	s_cmp_gt_i32 s2, 22
	s_mov_b32 s3, -1
	s_cbranch_scc0 .LBB7_2211
; %bb.2180:
	s_cmp_lt_i32 s2, 24
	s_cbranch_scc1 .LBB7_2200
; %bb.2181:
	s_cmp_gt_i32 s2, 24
	s_cbranch_scc0 .LBB7_2189
; %bb.2182:
	v_cvt_f32_f64_e32 v2, v[12:13]
	v_mov_b32_e32 v4, 0x80
	s_mov_b32 s3, exec_lo
	v_and_b32_e32 v3, 0x7fffffff, v2
	v_cmpx_gt_u32_e32 0x47800000, v3
	s_cbranch_execz .LBB7_2188
; %bb.2183:
	v_cmp_lt_u32_e32 vcc_lo, 0x37ffffff, v3
	s_mov_b32 s4, 0
                                        ; implicit-def: $vgpr3
	s_and_saveexec_b32 s5, vcc_lo
	s_xor_b32 s5, exec_lo, s5
	s_cbranch_execz .LBB7_2241
; %bb.2184:
	v_bfe_u32 v3, v2, 21, 1
	s_mov_b32 s4, exec_lo
	v_add3_u32 v3, v2, v3, 0x88fffff
	v_lshrrev_b32_e32 v3, 21, v3
	s_andn2_saveexec_b32 s5, s5
	s_cbranch_execnz .LBB7_2242
.LBB7_2185:
	s_or_b32 exec_lo, exec_lo, s5
	v_mov_b32_e32 v4, 0
	s_and_saveexec_b32 s5, s4
.LBB7_2186:
	v_lshrrev_b32_e32 v2, 24, v2
	v_and_or_b32 v4, 0x80, v2, v3
.LBB7_2187:
	s_or_b32 exec_lo, exec_lo, s5
.LBB7_2188:
	s_or_b32 exec_lo, exec_lo, s3
	s_mov_b32 s3, 0
	global_store_byte v[0:1], v4, off
.LBB7_2189:
	s_and_b32 vcc_lo, exec_lo, s3
	s_cbranch_vccz .LBB7_2199
; %bb.2190:
	v_cvt_f32_f64_e32 v2, v[12:13]
	s_mov_b32 s3, exec_lo
                                        ; implicit-def: $vgpr3
	v_and_b32_e32 v4, 0x7fffffff, v2
	v_cmpx_gt_u32_e32 0x43f00000, v4
	s_xor_b32 s3, exec_lo, s3
	s_cbranch_execz .LBB7_2196
; %bb.2191:
	s_mov_b32 s4, exec_lo
                                        ; implicit-def: $vgpr3
	v_cmpx_lt_u32_e32 0x3c7fffff, v4
	s_xor_b32 s4, exec_lo, s4
; %bb.2192:
	v_bfe_u32 v3, v2, 20, 1
	v_add3_u32 v3, v2, v3, 0x407ffff
	v_and_b32_e32 v4, 0xff00000, v3
	v_lshrrev_b32_e32 v3, 20, v3
	v_cmp_ne_u32_e32 vcc_lo, 0x7f00000, v4
	v_cndmask_b32_e32 v3, 0x7e, v3, vcc_lo
; %bb.2193:
	s_andn2_saveexec_b32 s4, s4
; %bb.2194:
	v_add_f32_e64 v3, 0x46800000, |v2|
; %bb.2195:
	s_or_b32 exec_lo, exec_lo, s4
                                        ; implicit-def: $vgpr4
.LBB7_2196:
	s_andn2_saveexec_b32 s3, s3
; %bb.2197:
	v_mov_b32_e32 v3, 0x7f
	v_cmp_lt_u32_e32 vcc_lo, 0x7f800000, v4
	v_cndmask_b32_e32 v3, 0x7e, v3, vcc_lo
; %bb.2198:
	s_or_b32 exec_lo, exec_lo, s3
	v_lshrrev_b32_e32 v2, 24, v2
	v_and_or_b32 v2, 0x80, v2, v3
	global_store_byte v[0:1], v2, off
.LBB7_2199:
	s_mov_b32 s3, 0
.LBB7_2200:
	s_andn2_b32 vcc_lo, exec_lo, s3
	s_cbranch_vccnz .LBB7_2210
; %bb.2201:
	v_cvt_f32_f64_e32 v2, v[12:13]
	s_mov_b32 s3, exec_lo
                                        ; implicit-def: $vgpr3
	v_and_b32_e32 v4, 0x7fffffff, v2
	v_cmpx_gt_u32_e32 0x47800000, v4
	s_xor_b32 s3, exec_lo, s3
	s_cbranch_execz .LBB7_2207
; %bb.2202:
	s_mov_b32 s4, exec_lo
                                        ; implicit-def: $vgpr3
	v_cmpx_lt_u32_e32 0x387fffff, v4
	s_xor_b32 s4, exec_lo, s4
; %bb.2203:
	v_bfe_u32 v3, v2, 21, 1
	v_add3_u32 v3, v2, v3, 0x80fffff
	v_lshrrev_b32_e32 v3, 21, v3
; %bb.2204:
	s_andn2_saveexec_b32 s4, s4
; %bb.2205:
	v_add_f32_e64 v3, 0x43000000, |v2|
; %bb.2206:
	s_or_b32 exec_lo, exec_lo, s4
                                        ; implicit-def: $vgpr4
.LBB7_2207:
	s_andn2_saveexec_b32 s3, s3
; %bb.2208:
	v_mov_b32_e32 v3, 0x7f
	v_cmp_lt_u32_e32 vcc_lo, 0x7f800000, v4
	v_cndmask_b32_e32 v3, 0x7c, v3, vcc_lo
; %bb.2209:
	s_or_b32 exec_lo, exec_lo, s3
	v_lshrrev_b32_e32 v2, 24, v2
	v_and_or_b32 v2, 0x80, v2, v3
	global_store_byte v[0:1], v2, off
.LBB7_2210:
	s_mov_b32 s3, 0
.LBB7_2211:
	s_andn2_b32 vcc_lo, exec_lo, s3
	s_mov_b32 s3, 0
	s_cbranch_vccnz .LBB7_2218
; %bb.2212:
	s_cmp_gt_i32 s2, 14
	s_mov_b32 s3, -1
	s_cbranch_scc0 .LBB7_2216
; %bb.2213:
	s_cmp_eq_u32 s2, 15
	s_mov_b32 s0, -1
	s_cbranch_scc0 .LBB7_2215
; %bb.2214:
	v_cvt_f32_f64_e32 v2, v[12:13]
	s_mov_b32 s0, 0
	v_bfe_u32 v3, v2, 16, 1
	v_cmp_o_f32_e32 vcc_lo, v2, v2
	v_add3_u32 v2, v2, v3, 0x7fff
	v_mov_b32_e32 v3, 0x7fc0
	v_cndmask_b32_sdwa v2, v3, v2, vcc_lo dst_sel:DWORD dst_unused:UNUSED_PAD src0_sel:DWORD src1_sel:WORD_1
	global_store_short v[0:1], v2, off
.LBB7_2215:
	s_mov_b32 s3, 0
.LBB7_2216:
	s_and_b32 vcc_lo, exec_lo, s3
	s_mov_b32 s3, 0
	s_cbranch_vccz .LBB7_2218
; %bb.2217:
	s_cmp_lg_u32 s2, 11
	s_mov_b32 s3, -1
	s_cselect_b32 s0, -1, 0
.LBB7_2218:
	s_and_b32 vcc_lo, exec_lo, s0
	s_cbranch_vccnz .LBB7_2240
.LBB7_2219:
	s_mov_b32 s0, 0
	s_branch .LBB7_1821
.LBB7_2220:
	s_mov_b32 s0, 0
	s_mov_b32 s3, 0
                                        ; implicit-def: $vgpr0_vgpr1
                                        ; implicit-def: $sgpr6
	s_branch .LBB7_1821
.LBB7_2221:
	s_mov_b32 s3, 0
	s_mov_b32 s0, -1
	s_branch .LBB7_1821
.LBB7_2222:
	s_or_b32 s1, s1, exec_lo
	s_trap 2
	s_cbranch_execz .LBB7_1680
	s_branch .LBB7_1681
.LBB7_2223:
	s_andn2_saveexec_b32 s10, s10
	s_cbranch_execz .LBB7_1770
.LBB7_2224:
	v_add_f32_e64 v3, 0x46000000, |v2|
	s_andn2_b32 s7, s7, exec_lo
	v_and_b32_e32 v3, 0xff, v3
	v_cmp_ne_u32_e32 vcc_lo, 0, v3
	s_and_b32 s11, vcc_lo, exec_lo
	s_or_b32 s7, s7, s11
	s_or_b32 exec_lo, exec_lo, s10
	v_mov_b32_e32 v7, 0
	s_and_saveexec_b32 s10, s7
	s_cbranch_execnz .LBB7_1771
	s_branch .LBB7_1772
.LBB7_2225:
	s_or_b32 s1, s1, exec_lo
	s_trap 2
	s_cbranch_execz .LBB7_1818
	s_branch .LBB7_1819
.LBB7_2226:
	s_andn2_saveexec_b32 s7, s7
	s_cbranch_execz .LBB7_1783
.LBB7_2227:
	v_add_f32_e64 v3, 0x42800000, |v2|
	s_andn2_b32 s6, s6, exec_lo
	v_and_b32_e32 v3, 0xff, v3
	v_cmp_ne_u32_e32 vcc_lo, 0, v3
	s_and_b32 s10, vcc_lo, exec_lo
	s_or_b32 s6, s6, s10
	s_or_b32 exec_lo, exec_lo, s7
	v_mov_b32_e32 v7, 0
	s_and_saveexec_b32 s7, s6
	s_cbranch_execnz .LBB7_1784
	s_branch .LBB7_1785
.LBB7_2228:
	s_andn2_saveexec_b32 s7, s7
	s_cbranch_execz .LBB7_1934
.LBB7_2229:
	v_add_f32_e64 v3, 0x46000000, |v2|
	s_andn2_b32 s5, s5, exec_lo
	v_and_b32_e32 v3, 0xff, v3
	v_cmp_ne_u32_e32 vcc_lo, 0, v3
	s_and_b32 s10, vcc_lo, exec_lo
	s_or_b32 s5, s5, s10
	s_or_b32 exec_lo, exec_lo, s7
	v_mov_b32_e32 v6, 0
	s_and_saveexec_b32 s7, s5
	s_cbranch_execnz .LBB7_1935
	s_branch .LBB7_1936
.LBB7_2230:
	s_or_b32 s1, s1, exec_lo
	s_trap 2
	s_cbranch_execz .LBB7_1982
	s_branch .LBB7_1983
.LBB7_2231:
	s_andn2_saveexec_b32 s5, s5
	s_cbranch_execz .LBB7_1947
.LBB7_2232:
	v_add_f32_e64 v3, 0x42800000, |v2|
	s_andn2_b32 s4, s4, exec_lo
	v_and_b32_e32 v3, 0xff, v3
	v_cmp_ne_u32_e32 vcc_lo, 0, v3
	s_and_b32 s7, vcc_lo, exec_lo
	s_or_b32 s4, s4, s7
	s_or_b32 exec_lo, exec_lo, s5
	v_mov_b32_e32 v6, 0
	s_and_saveexec_b32 s5, s4
	s_cbranch_execnz .LBB7_1948
	s_branch .LBB7_1949
.LBB7_2233:
	s_andn2_saveexec_b32 s7, s7
	s_cbranch_execz .LBB7_2053
.LBB7_2234:
	v_add_f32_e64 v3, 0x46000000, |v2|
	s_andn2_b32 s5, s5, exec_lo
	v_and_b32_e32 v3, 0xff, v3
	v_cmp_ne_u32_e32 vcc_lo, 0, v3
	s_and_b32 s10, vcc_lo, exec_lo
	s_or_b32 s5, s5, s10
	s_or_b32 exec_lo, exec_lo, s7
	v_mov_b32_e32 v4, 0
	s_and_saveexec_b32 s7, s5
	s_cbranch_execnz .LBB7_2054
	s_branch .LBB7_2055
.LBB7_2235:
	s_or_b32 s1, s1, exec_lo
	s_trap 2
	s_cbranch_execz .LBB7_2101
	s_branch .LBB7_2102
.LBB7_2236:
	s_andn2_saveexec_b32 s5, s5
	s_cbranch_execz .LBB7_2066
.LBB7_2237:
	v_add_f32_e64 v3, 0x42800000, |v2|
	s_andn2_b32 s4, s4, exec_lo
	v_and_b32_e32 v3, 0xff, v3
	v_cmp_ne_u32_e32 vcc_lo, 0, v3
	s_and_b32 s7, vcc_lo, exec_lo
	s_or_b32 s4, s4, s7
	s_or_b32 exec_lo, exec_lo, s5
	v_mov_b32_e32 v4, 0
	s_and_saveexec_b32 s5, s4
	s_cbranch_execnz .LBB7_2067
	s_branch .LBB7_2068
.LBB7_2238:
	s_andn2_saveexec_b32 s7, s7
	s_cbranch_execz .LBB7_2173
.LBB7_2239:
	v_add_f32_e64 v3, 0x46000000, |v2|
	s_andn2_b32 s5, s5, exec_lo
	v_and_b32_e32 v3, 0xff, v3
	v_cmp_ne_u32_e32 vcc_lo, 0, v3
	s_and_b32 s8, vcc_lo, exec_lo
	s_or_b32 s5, s5, s8
	s_or_b32 exec_lo, exec_lo, s7
	v_mov_b32_e32 v4, 0
	s_and_saveexec_b32 s7, s5
	s_cbranch_execnz .LBB7_2174
	s_branch .LBB7_2175
.LBB7_2240:
	s_mov_b32 s3, 0
	s_or_b32 s1, s1, exec_lo
	s_trap 2
	s_branch .LBB7_2219
.LBB7_2241:
	s_andn2_saveexec_b32 s5, s5
	s_cbranch_execz .LBB7_2185
.LBB7_2242:
	v_add_f32_e64 v3, 0x42800000, |v2|
	s_andn2_b32 s4, s4, exec_lo
	v_and_b32_e32 v3, 0xff, v3
	v_cmp_ne_u32_e32 vcc_lo, 0, v3
	s_and_b32 s7, vcc_lo, exec_lo
	s_or_b32 s4, s4, s7
	s_or_b32 exec_lo, exec_lo, s5
	v_mov_b32_e32 v4, 0
	s_and_saveexec_b32 s5, s4
	s_cbranch_execnz .LBB7_2186
	s_branch .LBB7_2187
	.section	.rodata,"a",@progbits
	.p2align	6, 0x0
	.amdhsa_kernel _ZN2at6native32elementwise_kernel_manual_unrollILi128ELi4EZNS0_15gpu_kernel_implIZZZNS0_12_GLOBAL__N_131spherical_bessel_j0_kernel_cudaERNS_18TensorIteratorBaseEENKUlvE_clEvENKUlvE_clEvEUldE_EEvS5_RKT_EUlibE0_EEviT1_
		.amdhsa_group_segment_fixed_size 0
		.amdhsa_private_segment_fixed_size 0
		.amdhsa_kernarg_size 360
		.amdhsa_user_sgpr_count 6
		.amdhsa_user_sgpr_private_segment_buffer 1
		.amdhsa_user_sgpr_dispatch_ptr 0
		.amdhsa_user_sgpr_queue_ptr 0
		.amdhsa_user_sgpr_kernarg_segment_ptr 1
		.amdhsa_user_sgpr_dispatch_id 0
		.amdhsa_user_sgpr_flat_scratch_init 0
		.amdhsa_user_sgpr_private_segment_size 0
		.amdhsa_wavefront_size32 1
		.amdhsa_uses_dynamic_stack 0
		.amdhsa_system_sgpr_private_segment_wavefront_offset 0
		.amdhsa_system_sgpr_workgroup_id_x 1
		.amdhsa_system_sgpr_workgroup_id_y 0
		.amdhsa_system_sgpr_workgroup_id_z 0
		.amdhsa_system_sgpr_workgroup_info 0
		.amdhsa_system_vgpr_workitem_id 0
		.amdhsa_next_free_vgpr 46
		.amdhsa_next_free_sgpr 68
		.amdhsa_reserve_vcc 1
		.amdhsa_reserve_flat_scratch 0
		.amdhsa_float_round_mode_32 0
		.amdhsa_float_round_mode_16_64 0
		.amdhsa_float_denorm_mode_32 3
		.amdhsa_float_denorm_mode_16_64 3
		.amdhsa_dx10_clamp 1
		.amdhsa_ieee_mode 1
		.amdhsa_fp16_overflow 0
		.amdhsa_workgroup_processor_mode 1
		.amdhsa_memory_ordered 1
		.amdhsa_forward_progress 1
		.amdhsa_shared_vgpr_count 0
		.amdhsa_exception_fp_ieee_invalid_op 0
		.amdhsa_exception_fp_denorm_src 0
		.amdhsa_exception_fp_ieee_div_zero 0
		.amdhsa_exception_fp_ieee_overflow 0
		.amdhsa_exception_fp_ieee_underflow 0
		.amdhsa_exception_fp_ieee_inexact 0
		.amdhsa_exception_int_div_zero 0
	.end_amdhsa_kernel
	.section	.text._ZN2at6native32elementwise_kernel_manual_unrollILi128ELi4EZNS0_15gpu_kernel_implIZZZNS0_12_GLOBAL__N_131spherical_bessel_j0_kernel_cudaERNS_18TensorIteratorBaseEENKUlvE_clEvENKUlvE_clEvEUldE_EEvS5_RKT_EUlibE0_EEviT1_,"axG",@progbits,_ZN2at6native32elementwise_kernel_manual_unrollILi128ELi4EZNS0_15gpu_kernel_implIZZZNS0_12_GLOBAL__N_131spherical_bessel_j0_kernel_cudaERNS_18TensorIteratorBaseEENKUlvE_clEvENKUlvE_clEvEUldE_EEvS5_RKT_EUlibE0_EEviT1_,comdat
.Lfunc_end7:
	.size	_ZN2at6native32elementwise_kernel_manual_unrollILi128ELi4EZNS0_15gpu_kernel_implIZZZNS0_12_GLOBAL__N_131spherical_bessel_j0_kernel_cudaERNS_18TensorIteratorBaseEENKUlvE_clEvENKUlvE_clEvEUldE_EEvS5_RKT_EUlibE0_EEviT1_, .Lfunc_end7-_ZN2at6native32elementwise_kernel_manual_unrollILi128ELi4EZNS0_15gpu_kernel_implIZZZNS0_12_GLOBAL__N_131spherical_bessel_j0_kernel_cudaERNS_18TensorIteratorBaseEENKUlvE_clEvENKUlvE_clEvEUldE_EEvS5_RKT_EUlibE0_EEviT1_
                                        ; -- End function
	.set _ZN2at6native32elementwise_kernel_manual_unrollILi128ELi4EZNS0_15gpu_kernel_implIZZZNS0_12_GLOBAL__N_131spherical_bessel_j0_kernel_cudaERNS_18TensorIteratorBaseEENKUlvE_clEvENKUlvE_clEvEUldE_EEvS5_RKT_EUlibE0_EEviT1_.num_vgpr, 46
	.set _ZN2at6native32elementwise_kernel_manual_unrollILi128ELi4EZNS0_15gpu_kernel_implIZZZNS0_12_GLOBAL__N_131spherical_bessel_j0_kernel_cudaERNS_18TensorIteratorBaseEENKUlvE_clEvENKUlvE_clEvEUldE_EEvS5_RKT_EUlibE0_EEviT1_.num_agpr, 0
	.set _ZN2at6native32elementwise_kernel_manual_unrollILi128ELi4EZNS0_15gpu_kernel_implIZZZNS0_12_GLOBAL__N_131spherical_bessel_j0_kernel_cudaERNS_18TensorIteratorBaseEENKUlvE_clEvENKUlvE_clEvEUldE_EEvS5_RKT_EUlibE0_EEviT1_.numbered_sgpr, 68
	.set _ZN2at6native32elementwise_kernel_manual_unrollILi128ELi4EZNS0_15gpu_kernel_implIZZZNS0_12_GLOBAL__N_131spherical_bessel_j0_kernel_cudaERNS_18TensorIteratorBaseEENKUlvE_clEvENKUlvE_clEvEUldE_EEvS5_RKT_EUlibE0_EEviT1_.num_named_barrier, 0
	.set _ZN2at6native32elementwise_kernel_manual_unrollILi128ELi4EZNS0_15gpu_kernel_implIZZZNS0_12_GLOBAL__N_131spherical_bessel_j0_kernel_cudaERNS_18TensorIteratorBaseEENKUlvE_clEvENKUlvE_clEvEUldE_EEvS5_RKT_EUlibE0_EEviT1_.private_seg_size, 0
	.set _ZN2at6native32elementwise_kernel_manual_unrollILi128ELi4EZNS0_15gpu_kernel_implIZZZNS0_12_GLOBAL__N_131spherical_bessel_j0_kernel_cudaERNS_18TensorIteratorBaseEENKUlvE_clEvENKUlvE_clEvEUldE_EEvS5_RKT_EUlibE0_EEviT1_.uses_vcc, 1
	.set _ZN2at6native32elementwise_kernel_manual_unrollILi128ELi4EZNS0_15gpu_kernel_implIZZZNS0_12_GLOBAL__N_131spherical_bessel_j0_kernel_cudaERNS_18TensorIteratorBaseEENKUlvE_clEvENKUlvE_clEvEUldE_EEvS5_RKT_EUlibE0_EEviT1_.uses_flat_scratch, 0
	.set _ZN2at6native32elementwise_kernel_manual_unrollILi128ELi4EZNS0_15gpu_kernel_implIZZZNS0_12_GLOBAL__N_131spherical_bessel_j0_kernel_cudaERNS_18TensorIteratorBaseEENKUlvE_clEvENKUlvE_clEvEUldE_EEvS5_RKT_EUlibE0_EEviT1_.has_dyn_sized_stack, 0
	.set _ZN2at6native32elementwise_kernel_manual_unrollILi128ELi4EZNS0_15gpu_kernel_implIZZZNS0_12_GLOBAL__N_131spherical_bessel_j0_kernel_cudaERNS_18TensorIteratorBaseEENKUlvE_clEvENKUlvE_clEvEUldE_EEvS5_RKT_EUlibE0_EEviT1_.has_recursion, 0
	.set _ZN2at6native32elementwise_kernel_manual_unrollILi128ELi4EZNS0_15gpu_kernel_implIZZZNS0_12_GLOBAL__N_131spherical_bessel_j0_kernel_cudaERNS_18TensorIteratorBaseEENKUlvE_clEvENKUlvE_clEvEUldE_EEvS5_RKT_EUlibE0_EEviT1_.has_indirect_call, 0
	.section	.AMDGPU.csdata,"",@progbits
; Kernel info:
; codeLenInByte = 52792
; TotalNumSgprs: 70
; NumVgprs: 46
; ScratchSize: 0
; MemoryBound: 1
; FloatMode: 240
; IeeeMode: 1
; LDSByteSize: 0 bytes/workgroup (compile time only)
; SGPRBlocks: 0
; VGPRBlocks: 5
; NumSGPRsForWavesPerEU: 70
; NumVGPRsForWavesPerEU: 46
; Occupancy: 16
; WaveLimiterHint : 1
; COMPUTE_PGM_RSRC2:SCRATCH_EN: 0
; COMPUTE_PGM_RSRC2:USER_SGPR: 6
; COMPUTE_PGM_RSRC2:TRAP_HANDLER: 0
; COMPUTE_PGM_RSRC2:TGID_X_EN: 1
; COMPUTE_PGM_RSRC2:TGID_Y_EN: 0
; COMPUTE_PGM_RSRC2:TGID_Z_EN: 0
; COMPUTE_PGM_RSRC2:TIDIG_COMP_CNT: 0
	.section	.text._ZN2at6native29vectorized_elementwise_kernelILi16EZZZNS0_12_GLOBAL__N_131spherical_bessel_j0_kernel_cudaERNS_18TensorIteratorBaseEENKUlvE_clEvENKUlvE0_clEvEUlfE_St5arrayIPcLm2EEEEviT0_T1_,"axG",@progbits,_ZN2at6native29vectorized_elementwise_kernelILi16EZZZNS0_12_GLOBAL__N_131spherical_bessel_j0_kernel_cudaERNS_18TensorIteratorBaseEENKUlvE_clEvENKUlvE0_clEvEUlfE_St5arrayIPcLm2EEEEviT0_T1_,comdat
	.globl	_ZN2at6native29vectorized_elementwise_kernelILi16EZZZNS0_12_GLOBAL__N_131spherical_bessel_j0_kernel_cudaERNS_18TensorIteratorBaseEENKUlvE_clEvENKUlvE0_clEvEUlfE_St5arrayIPcLm2EEEEviT0_T1_ ; -- Begin function _ZN2at6native29vectorized_elementwise_kernelILi16EZZZNS0_12_GLOBAL__N_131spherical_bessel_j0_kernel_cudaERNS_18TensorIteratorBaseEENKUlvE_clEvENKUlvE0_clEvEUlfE_St5arrayIPcLm2EEEEviT0_T1_
	.p2align	8
	.type	_ZN2at6native29vectorized_elementwise_kernelILi16EZZZNS0_12_GLOBAL__N_131spherical_bessel_j0_kernel_cudaERNS_18TensorIteratorBaseEENKUlvE_clEvENKUlvE0_clEvEUlfE_St5arrayIPcLm2EEEEviT0_T1_,@function
_ZN2at6native29vectorized_elementwise_kernelILi16EZZZNS0_12_GLOBAL__N_131spherical_bessel_j0_kernel_cudaERNS_18TensorIteratorBaseEENKUlvE_clEvENKUlvE0_clEvEUlfE_St5arrayIPcLm2EEEEviT0_T1_: ; @_ZN2at6native29vectorized_elementwise_kernelILi16EZZZNS0_12_GLOBAL__N_131spherical_bessel_j0_kernel_cudaERNS_18TensorIteratorBaseEENKUlvE_clEvENKUlvE0_clEvEUlfE_St5arrayIPcLm2EEEEviT0_T1_
; %bb.0:
	s_clause 0x1
	s_load_dword s0, s[4:5], 0x0
	s_load_dwordx4 s[8:11], s[4:5], 0x8
	s_lshl_b32 s4, s6, 10
	s_waitcnt lgkmcnt(0)
	s_sub_i32 s6, s0, s4
	s_mov_b32 s0, -1
	s_cmpk_gt_i32 s6, 0x3ff
	s_cbranch_scc0 .LBB8_42
; %bb.1:
	s_ashr_i32 s5, s4, 31
	v_lshlrev_b32_e32 v9, 4, v0
	s_lshl_b64 s[2:3], s[4:5], 2
	v_mov_b32_e32 v2, 0
	s_add_u32 s0, s10, s2
	s_addc_u32 s1, s11, s3
	v_mov_b32_e32 v1, 0
	global_load_dwordx4 v[5:8], v9, s[0:1]
	s_mov_b32 s5, exec_lo
	s_waitcnt vmcnt(0)
	v_cmpx_neq_f32_e64 0x7f800000, |v5|
	s_cbranch_execz .LBB8_11
; %bb.2:
	s_mov_b32 s1, exec_lo
	v_cmpx_nlt_f32_e64 |v5|, 0.5
	s_xor_b32 s7, exec_lo, s1
	s_cbranch_execz .LBB8_8
; %bb.3:
	v_and_b32_e32 v1, 0x7fffffff, v5
                                        ; implicit-def: $vgpr4
                                        ; implicit-def: $vgpr3
	s_mov_b32 s1, exec_lo
	v_cmpx_ngt_f32_e64 0x48000000, |v5|
	s_xor_b32 s12, exec_lo, s1
	s_cbranch_execz .LBB8_5
; %bb.4:
	s_mov_b32 s0, 0x7fffff
	v_mov_b32_e32 v11, 0
	v_and_or_b32 v18, v1, s0, 0x800000
	v_mad_u64_u32 v[3:4], null, 0xfe5163ab, v18, 0
	v_mov_b32_e32 v10, v4
	v_lshrrev_b32_e32 v4, 23, v1
	v_mad_u64_u32 v[12:13], null, 0x3c439041, v18, v[10:11]
	v_add_nc_u32_e32 v4, 0xffffff88, v4
	v_cmp_lt_u32_e32 vcc_lo, 63, v4
	v_mov_b32_e32 v10, v13
	v_cndmask_b32_e64 v17, 0, 0xffffffc0, vcc_lo
	v_mad_u64_u32 v[13:14], null, 0xdb629599, v18, v[10:11]
	v_add_nc_u32_e32 v4, v17, v4
	v_mov_b32_e32 v10, v14
	v_cmp_lt_u32_e64 s0, 31, v4
	v_cndmask_b32_e32 v3, v13, v3, vcc_lo
	v_mad_u64_u32 v[14:15], null, 0xf534ddc0, v18, v[10:11]
	v_cndmask_b32_e64 v19, 0, 0xffffffe0, s0
	v_add_nc_u32_e32 v4, v19, v4
	v_mov_b32_e32 v10, v15
	v_cndmask_b32_e32 v12, v14, v12, vcc_lo
	v_cmp_lt_u32_e64 s1, 31, v4
	v_mad_u64_u32 v[15:16], null, 0xfc2757d1, v18, v[10:11]
	v_cndmask_b32_e64 v3, v12, v3, s0
	v_mov_b32_e32 v10, v16
	v_mad_u64_u32 v[16:17], null, 0x4e441529, v18, v[10:11]
	v_mov_b32_e32 v10, v17
	v_cndmask_b32_e64 v17, 0, 0xffffffe0, s1
	v_mad_u64_u32 v[10:11], null, 0xa2f9836e, v18, v[10:11]
	v_cndmask_b32_e32 v18, v16, v14, vcc_lo
	v_add_nc_u32_e32 v4, v17, v4
	v_cndmask_b32_e32 v10, v10, v15, vcc_lo
	v_cndmask_b32_e32 v11, v11, v16, vcc_lo
	;; [unrolled: 1-line block ×3, first 2 shown]
	v_sub_nc_u32_e32 v16, 32, v4
	v_cmp_eq_u32_e32 vcc_lo, 0, v4
	v_cndmask_b32_e64 v14, v10, v18, s0
	v_cndmask_b32_e64 v10, v11, v10, s0
	;; [unrolled: 1-line block ×8, first 2 shown]
	v_alignbit_b32 v17, v10, v14, v16
	v_alignbit_b32 v13, v14, v11, v16
	v_alignbit_b32 v15, v11, v3, v16
	v_cndmask_b32_e32 v4, v17, v10, vcc_lo
	v_cndmask_b32_e32 v10, v13, v14, vcc_lo
	;; [unrolled: 1-line block ×3, first 2 shown]
	v_bfe_u32 v12, v4, 29, 1
	v_alignbit_b32 v13, v4, v10, 30
	v_alignbit_b32 v10, v10, v11, 30
	;; [unrolled: 1-line block ×3, first 2 shown]
	v_sub_nc_u32_e32 v14, 0, v12
	v_xor_b32_e32 v13, v13, v14
	v_xor_b32_e32 v10, v10, v14
	v_xor_b32_e32 v3, v3, v14
	v_lshrrev_b32_e32 v14, 29, v4
	v_lshrrev_b32_e32 v4, 30, v4
	v_ffbh_u32_e32 v15, v13
	v_add_nc_u32_e32 v4, v12, v4
	v_min_u32_e32 v15, 32, v15
	v_sub_nc_u32_e32 v11, 31, v15
	v_lshlrev_b32_e32 v16, 23, v15
	v_alignbit_b32 v13, v13, v10, v11
	v_alignbit_b32 v3, v10, v3, v11
	v_lshlrev_b32_e32 v10, 31, v14
	v_alignbit_b32 v11, v13, v3, 9
	v_or_b32_e32 v14, 0.5, v10
	v_lshrrev_b32_e32 v13, 9, v13
	v_or_b32_e32 v10, 0x33000000, v10
	v_ffbh_u32_e32 v17, v11
	v_sub_nc_u32_e32 v14, v14, v16
	v_min_u32_e32 v16, 32, v17
	v_or_b32_e32 v13, v13, v14
	v_not_b32_e32 v14, v16
	v_mul_f32_e32 v17, 0x3fc90fda, v13
	v_add_lshl_u32 v15, v16, v15, 23
	v_alignbit_b32 v3, v11, v3, v14
	v_fma_f32 v11, 0x3fc90fda, v13, -v17
	v_sub_nc_u32_e32 v10, v10, v15
	v_lshrrev_b32_e32 v3, 9, v3
	v_fmamk_f32 v11, v13, 0x33a22168, v11
	v_or_b32_e32 v3, v10, v3
	v_fmac_f32_e32 v11, 0x3fc90fda, v3
	v_add_f32_e32 v3, v17, v11
.LBB8_5:
	s_andn2_saveexec_b32 s0, s12
; %bb.6:
	v_mul_f32_e64 v3, 0x3f22f983, |v5|
	v_rndne_f32_e32 v4, v3
	v_fma_f32 v3, 0xbfc90fda, v4, |v5|
	v_fmamk_f32 v3, v4, 0xb3a22168, v3
	v_fmamk_f32 v3, v4, 0xa7c234c4, v3
	v_cvt_i32_f32_e32 v4, v4
; %bb.7:
	s_or_b32 exec_lo, exec_lo, s0
	v_mul_f32_e32 v10, v3, v3
	s_mov_b32 s0, 0xb94c1982
	s_mov_b32 s1, 0x37d75334
	v_and_b32_e32 v13, 1, v4
	v_lshlrev_b32_e32 v4, 30, v4
	v_fmaak_f32 v11, s0, v10, 0x3c0881c4
	v_fmaak_f32 v12, s1, v10, 0xbab64f3b
	v_xor_b32_e32 v1, v1, v5
	v_cmp_eq_u32_e32 vcc_lo, 0, v13
	v_and_b32_e32 v4, 0x80000000, v4
	v_fmaak_f32 v11, v10, v11, 0xbe2aaa9d
	v_fmaak_f32 v12, v10, v12, 0x3d2aabf7
	v_mul_f32_e32 v11, v10, v11
	v_fmaak_f32 v12, v10, v12, 0xbf000004
	v_fmac_f32_e32 v3, v3, v11
	v_fma_f32 v10, v10, v12, 1.0
	v_cndmask_b32_e32 v3, v10, v3, vcc_lo
	v_cmp_class_f32_e64 vcc_lo, v5, 0x1f8
	v_xor3_b32 v1, v1, v4, v3
	v_cndmask_b32_e32 v1, 0x7fc00000, v1, vcc_lo
	v_div_scale_f32 v3, null, v5, v5, v1
	v_rcp_f32_e32 v4, v3
	v_fma_f32 v10, -v3, v4, 1.0
	v_fmac_f32_e32 v4, v10, v4
	v_div_scale_f32 v10, vcc_lo, v1, v5, v1
	v_mul_f32_e32 v11, v10, v4
	v_fma_f32 v12, -v3, v11, v10
	v_fmac_f32_e32 v11, v12, v4
	v_fma_f32 v3, -v3, v11, v10
	v_div_fmas_f32 v3, v3, v4, v11
	v_div_fixup_f32 v1, v3, v5, v1
.LBB8_8:
	s_andn2_saveexec_b32 s0, s7
	s_cbranch_execz .LBB8_10
; %bb.9:
	v_mul_f32_e32 v1, v5, v5
	s_mov_b32 s1, 0x2f309231
	v_fmaak_f32 v3, s1, v1, 0xb2d7322b
	v_fmaak_f32 v3, v1, v3, 0x3638ef1d
	;; [unrolled: 1-line block ×5, first 2 shown]
	v_fma_f32 v1, v1, v3, 1.0
.LBB8_10:
	s_or_b32 exec_lo, exec_lo, s0
.LBB8_11:
	s_or_b32 exec_lo, exec_lo, s5
	s_mov_b32 s5, exec_lo
	v_cmpx_neq_f32_e64 0x7f800000, |v6|
	s_cbranch_execz .LBB8_21
; %bb.12:
	s_mov_b32 s1, exec_lo
	v_cmpx_nlt_f32_e64 |v6|, 0.5
	s_xor_b32 s7, exec_lo, s1
	s_cbranch_execz .LBB8_18
; %bb.13:
	v_and_b32_e32 v2, 0x7fffffff, v6
                                        ; implicit-def: $vgpr4
                                        ; implicit-def: $vgpr3
	s_mov_b32 s1, exec_lo
	v_cmpx_ngt_f32_e64 0x48000000, |v6|
	s_xor_b32 s12, exec_lo, s1
	s_cbranch_execz .LBB8_15
; %bb.14:
	s_mov_b32 s0, 0x7fffff
	v_mov_b32_e32 v5, 0
	v_and_or_b32 v16, v2, s0, 0x800000
	v_lshrrev_b32_e32 v14, 23, v2
	v_mad_u64_u32 v[3:4], null, 0xfe5163ab, v16, 0
	v_add_nc_u32_e32 v15, 0xffffff88, v14
	v_cmp_lt_u32_e32 vcc_lo, 63, v15
	v_mad_u64_u32 v[10:11], null, 0x3c439041, v16, v[4:5]
	v_cndmask_b32_e64 v17, 0, 0xffffffc0, vcc_lo
	v_mov_b32_e32 v4, v11
	v_add_nc_u32_e32 v17, v17, v15
	v_mad_u64_u32 v[11:12], null, 0xdb629599, v16, v[4:5]
	v_cmp_lt_u32_e64 s0, 31, v17
	v_cndmask_b32_e64 v18, 0, 0xffffffe0, s0
	v_mov_b32_e32 v4, v12
	v_cndmask_b32_e32 v3, v11, v3, vcc_lo
	v_mad_u64_u32 v[12:13], null, 0xf534ddc0, v16, v[4:5]
	v_mov_b32_e32 v4, v13
	v_cndmask_b32_e32 v10, v12, v10, vcc_lo
	v_mad_u64_u32 v[13:14], null, 0xfc2757d1, v16, v[4:5]
	v_cndmask_b32_e64 v3, v10, v3, s0
	v_mov_b32_e32 v4, v14
	v_mad_u64_u32 v[14:15], null, 0x4e441529, v16, v[4:5]
	v_mov_b32_e32 v4, v15
	v_add_nc_u32_e32 v15, v18, v17
	v_cndmask_b32_e32 v17, v14, v12, vcc_lo
	v_mad_u64_u32 v[4:5], null, 0xa2f9836e, v16, v[4:5]
	v_cmp_lt_u32_e64 s1, 31, v15
	v_cndmask_b32_e64 v16, 0, 0xffffffe0, s1
	v_cndmask_b32_e32 v4, v4, v13, vcc_lo
	v_cndmask_b32_e32 v5, v5, v14, vcc_lo
	;; [unrolled: 1-line block ×3, first 2 shown]
	v_add_nc_u32_e32 v14, v16, v15
	v_cndmask_b32_e64 v12, v4, v17, s0
	v_cndmask_b32_e64 v4, v5, v4, s0
	;; [unrolled: 1-line block ×4, first 2 shown]
	v_sub_nc_u32_e32 v15, 32, v14
	v_cmp_eq_u32_e32 vcc_lo, 0, v14
	v_cndmask_b32_e64 v4, v4, v12, s1
	v_cndmask_b32_e64 v12, v12, v5, s1
	;; [unrolled: 1-line block ×4, first 2 shown]
	v_alignbit_b32 v16, v4, v12, v15
	v_alignbit_b32 v11, v12, v5, v15
	v_alignbit_b32 v14, v5, v3, v15
	v_cndmask_b32_e32 v4, v16, v4, vcc_lo
	v_cndmask_b32_e32 v10, v11, v12, vcc_lo
	;; [unrolled: 1-line block ×3, first 2 shown]
	v_bfe_u32 v11, v4, 29, 1
	v_alignbit_b32 v12, v4, v10, 30
	v_alignbit_b32 v10, v10, v5, 30
	;; [unrolled: 1-line block ×3, first 2 shown]
	v_sub_nc_u32_e32 v13, 0, v11
	v_xor_b32_e32 v12, v12, v13
	v_xor_b32_e32 v5, v10, v13
	;; [unrolled: 1-line block ×3, first 2 shown]
	v_lshrrev_b32_e32 v13, 29, v4
	v_lshrrev_b32_e32 v4, 30, v4
	v_ffbh_u32_e32 v14, v12
	v_add_nc_u32_e32 v4, v11, v4
	v_min_u32_e32 v14, 32, v14
	v_sub_nc_u32_e32 v10, 31, v14
	v_lshlrev_b32_e32 v15, 23, v14
	v_alignbit_b32 v12, v12, v5, v10
	v_alignbit_b32 v3, v5, v3, v10
	v_lshlrev_b32_e32 v5, 31, v13
	v_alignbit_b32 v10, v12, v3, 9
	v_or_b32_e32 v13, 0.5, v5
	v_lshrrev_b32_e32 v12, 9, v12
	v_or_b32_e32 v5, 0x33000000, v5
	v_ffbh_u32_e32 v16, v10
	v_sub_nc_u32_e32 v13, v13, v15
	v_min_u32_e32 v15, 32, v16
	v_or_b32_e32 v12, v12, v13
	v_not_b32_e32 v13, v15
	v_mul_f32_e32 v16, 0x3fc90fda, v12
	v_add_lshl_u32 v14, v15, v14, 23
	v_alignbit_b32 v3, v10, v3, v13
	v_fma_f32 v10, 0x3fc90fda, v12, -v16
	v_sub_nc_u32_e32 v5, v5, v14
	v_lshrrev_b32_e32 v3, 9, v3
	v_fmamk_f32 v10, v12, 0x33a22168, v10
	v_or_b32_e32 v3, v5, v3
	v_fmac_f32_e32 v10, 0x3fc90fda, v3
	v_add_f32_e32 v3, v16, v10
.LBB8_15:
	s_andn2_saveexec_b32 s0, s12
; %bb.16:
	v_mul_f32_e64 v3, 0x3f22f983, |v6|
	v_rndne_f32_e32 v4, v3
	v_fma_f32 v3, 0xbfc90fda, v4, |v6|
	v_fmamk_f32 v3, v4, 0xb3a22168, v3
	v_fmamk_f32 v3, v4, 0xa7c234c4, v3
	v_cvt_i32_f32_e32 v4, v4
; %bb.17:
	s_or_b32 exec_lo, exec_lo, s0
	v_mul_f32_e32 v5, v3, v3
	s_mov_b32 s0, 0xb94c1982
	s_mov_b32 s1, 0x37d75334
	v_and_b32_e32 v12, 1, v4
	v_lshlrev_b32_e32 v4, 30, v4
	v_fmaak_f32 v10, s0, v5, 0x3c0881c4
	v_fmaak_f32 v11, s1, v5, 0xbab64f3b
	v_xor_b32_e32 v2, v2, v6
	v_cmp_eq_u32_e32 vcc_lo, 0, v12
	v_and_b32_e32 v4, 0x80000000, v4
	v_fmaak_f32 v10, v5, v10, 0xbe2aaa9d
	v_fmaak_f32 v11, v5, v11, 0x3d2aabf7
	v_mul_f32_e32 v10, v5, v10
	v_fmaak_f32 v11, v5, v11, 0xbf000004
	v_fmac_f32_e32 v3, v3, v10
	v_fma_f32 v5, v5, v11, 1.0
	v_cndmask_b32_e32 v3, v5, v3, vcc_lo
	v_cmp_class_f32_e64 vcc_lo, v6, 0x1f8
	v_xor3_b32 v2, v2, v4, v3
	v_cndmask_b32_e32 v2, 0x7fc00000, v2, vcc_lo
	v_div_scale_f32 v3, null, v6, v6, v2
	v_rcp_f32_e32 v4, v3
	v_fma_f32 v5, -v3, v4, 1.0
	v_fmac_f32_e32 v4, v5, v4
	v_div_scale_f32 v5, vcc_lo, v2, v6, v2
	v_mul_f32_e32 v10, v5, v4
	v_fma_f32 v11, -v3, v10, v5
	v_fmac_f32_e32 v10, v11, v4
	v_fma_f32 v3, -v3, v10, v5
	v_div_fmas_f32 v3, v3, v4, v10
	v_div_fixup_f32 v2, v3, v6, v2
.LBB8_18:
	s_andn2_saveexec_b32 s0, s7
	s_cbranch_execz .LBB8_20
; %bb.19:
	v_mul_f32_e32 v2, v6, v6
	s_mov_b32 s1, 0x2f309231
	v_fmaak_f32 v3, s1, v2, 0xb2d7322b
	v_fmaak_f32 v3, v2, v3, 0x3638ef1d
	;; [unrolled: 1-line block ×5, first 2 shown]
	v_fma_f32 v2, v2, v3, 1.0
.LBB8_20:
	s_or_b32 exec_lo, exec_lo, s0
.LBB8_21:
	s_or_b32 exec_lo, exec_lo, s5
	v_mov_b32_e32 v4, 0
	v_mov_b32_e32 v3, 0
	s_mov_b32 s5, exec_lo
	v_cmpx_neq_f32_e64 0x7f800000, |v7|
	s_cbranch_execz .LBB8_31
; %bb.22:
	s_mov_b32 s1, exec_lo
	v_cmpx_nlt_f32_e64 |v7|, 0.5
	s_xor_b32 s7, exec_lo, s1
	s_cbranch_execz .LBB8_28
; %bb.23:
	v_and_b32_e32 v3, 0x7fffffff, v7
                                        ; implicit-def: $vgpr6
                                        ; implicit-def: $vgpr5
	s_mov_b32 s1, exec_lo
	v_cmpx_ngt_f32_e64 0x48000000, |v7|
	s_xor_b32 s12, exec_lo, s1
	s_cbranch_execz .LBB8_25
; %bb.24:
	s_mov_b32 s0, 0x7fffff
	v_mov_b32_e32 v11, 0
	v_and_or_b32 v18, v3, s0, 0x800000
	v_mad_u64_u32 v[5:6], null, 0xfe5163ab, v18, 0
	v_mov_b32_e32 v10, v6
	v_lshrrev_b32_e32 v6, 23, v3
	v_mad_u64_u32 v[12:13], null, 0x3c439041, v18, v[10:11]
	v_add_nc_u32_e32 v6, 0xffffff88, v6
	v_cmp_lt_u32_e32 vcc_lo, 63, v6
	v_mov_b32_e32 v10, v13
	v_cndmask_b32_e64 v17, 0, 0xffffffc0, vcc_lo
	v_mad_u64_u32 v[13:14], null, 0xdb629599, v18, v[10:11]
	v_add_nc_u32_e32 v6, v17, v6
	v_mov_b32_e32 v10, v14
	v_cmp_lt_u32_e64 s0, 31, v6
	v_cndmask_b32_e32 v5, v13, v5, vcc_lo
	v_mad_u64_u32 v[14:15], null, 0xf534ddc0, v18, v[10:11]
	v_cndmask_b32_e64 v19, 0, 0xffffffe0, s0
	v_add_nc_u32_e32 v6, v19, v6
	v_mov_b32_e32 v10, v15
	v_cndmask_b32_e32 v12, v14, v12, vcc_lo
	v_cmp_lt_u32_e64 s1, 31, v6
	v_mad_u64_u32 v[15:16], null, 0xfc2757d1, v18, v[10:11]
	v_cndmask_b32_e64 v5, v12, v5, s0
	v_mov_b32_e32 v10, v16
	v_mad_u64_u32 v[16:17], null, 0x4e441529, v18, v[10:11]
	v_mov_b32_e32 v10, v17
	v_cndmask_b32_e64 v17, 0, 0xffffffe0, s1
	v_mad_u64_u32 v[10:11], null, 0xa2f9836e, v18, v[10:11]
	v_cndmask_b32_e32 v18, v16, v14, vcc_lo
	v_add_nc_u32_e32 v6, v17, v6
	v_cndmask_b32_e32 v10, v10, v15, vcc_lo
	v_cndmask_b32_e32 v11, v11, v16, vcc_lo
	;; [unrolled: 1-line block ×3, first 2 shown]
	v_sub_nc_u32_e32 v16, 32, v6
	v_cmp_eq_u32_e32 vcc_lo, 0, v6
	v_cndmask_b32_e64 v14, v10, v18, s0
	v_cndmask_b32_e64 v10, v11, v10, s0
	;; [unrolled: 1-line block ×8, first 2 shown]
	v_alignbit_b32 v17, v10, v14, v16
	v_alignbit_b32 v13, v14, v11, v16
	;; [unrolled: 1-line block ×3, first 2 shown]
	v_cndmask_b32_e32 v6, v17, v10, vcc_lo
	v_cndmask_b32_e32 v10, v13, v14, vcc_lo
	;; [unrolled: 1-line block ×3, first 2 shown]
	v_bfe_u32 v12, v6, 29, 1
	v_alignbit_b32 v13, v6, v10, 30
	v_alignbit_b32 v10, v10, v11, 30
	v_alignbit_b32 v5, v11, v5, 30
	v_sub_nc_u32_e32 v14, 0, v12
	v_xor_b32_e32 v13, v13, v14
	v_xor_b32_e32 v10, v10, v14
	;; [unrolled: 1-line block ×3, first 2 shown]
	v_lshrrev_b32_e32 v14, 29, v6
	v_lshrrev_b32_e32 v6, 30, v6
	v_ffbh_u32_e32 v15, v13
	v_add_nc_u32_e32 v6, v12, v6
	v_min_u32_e32 v15, 32, v15
	v_sub_nc_u32_e32 v11, 31, v15
	v_lshlrev_b32_e32 v16, 23, v15
	v_alignbit_b32 v13, v13, v10, v11
	v_alignbit_b32 v5, v10, v5, v11
	v_lshlrev_b32_e32 v10, 31, v14
	v_alignbit_b32 v11, v13, v5, 9
	v_or_b32_e32 v14, 0.5, v10
	v_lshrrev_b32_e32 v13, 9, v13
	v_or_b32_e32 v10, 0x33000000, v10
	v_ffbh_u32_e32 v17, v11
	v_sub_nc_u32_e32 v14, v14, v16
	v_min_u32_e32 v16, 32, v17
	v_or_b32_e32 v13, v13, v14
	v_not_b32_e32 v14, v16
	v_mul_f32_e32 v17, 0x3fc90fda, v13
	v_add_lshl_u32 v15, v16, v15, 23
	v_alignbit_b32 v5, v11, v5, v14
	v_fma_f32 v11, 0x3fc90fda, v13, -v17
	v_sub_nc_u32_e32 v10, v10, v15
	v_lshrrev_b32_e32 v5, 9, v5
	v_fmamk_f32 v11, v13, 0x33a22168, v11
	v_or_b32_e32 v5, v10, v5
	v_fmac_f32_e32 v11, 0x3fc90fda, v5
	v_add_f32_e32 v5, v17, v11
.LBB8_25:
	s_andn2_saveexec_b32 s0, s12
; %bb.26:
	v_mul_f32_e64 v5, 0x3f22f983, |v7|
	v_rndne_f32_e32 v6, v5
	v_fma_f32 v5, 0xbfc90fda, v6, |v7|
	v_fmamk_f32 v5, v6, 0xb3a22168, v5
	v_fmamk_f32 v5, v6, 0xa7c234c4, v5
	v_cvt_i32_f32_e32 v6, v6
; %bb.27:
	s_or_b32 exec_lo, exec_lo, s0
	v_mul_f32_e32 v10, v5, v5
	s_mov_b32 s0, 0xb94c1982
	s_mov_b32 s1, 0x37d75334
	v_and_b32_e32 v13, 1, v6
	v_lshlrev_b32_e32 v6, 30, v6
	v_fmaak_f32 v11, s0, v10, 0x3c0881c4
	v_fmaak_f32 v12, s1, v10, 0xbab64f3b
	v_xor_b32_e32 v3, v3, v7
	v_cmp_eq_u32_e32 vcc_lo, 0, v13
	v_and_b32_e32 v6, 0x80000000, v6
	v_fmaak_f32 v11, v10, v11, 0xbe2aaa9d
	v_fmaak_f32 v12, v10, v12, 0x3d2aabf7
	v_mul_f32_e32 v11, v10, v11
	v_fmaak_f32 v12, v10, v12, 0xbf000004
	v_fmac_f32_e32 v5, v5, v11
	v_fma_f32 v10, v10, v12, 1.0
	v_cndmask_b32_e32 v5, v10, v5, vcc_lo
	v_cmp_class_f32_e64 vcc_lo, v7, 0x1f8
	v_xor3_b32 v3, v3, v6, v5
	v_cndmask_b32_e32 v3, 0x7fc00000, v3, vcc_lo
	v_div_scale_f32 v5, null, v7, v7, v3
	v_rcp_f32_e32 v6, v5
	v_fma_f32 v10, -v5, v6, 1.0
	v_fmac_f32_e32 v6, v10, v6
	v_div_scale_f32 v10, vcc_lo, v3, v7, v3
	v_mul_f32_e32 v11, v10, v6
	v_fma_f32 v12, -v5, v11, v10
	v_fmac_f32_e32 v11, v12, v6
	v_fma_f32 v5, -v5, v11, v10
	v_div_fmas_f32 v5, v5, v6, v11
	v_div_fixup_f32 v3, v5, v7, v3
.LBB8_28:
	s_andn2_saveexec_b32 s0, s7
	s_cbranch_execz .LBB8_30
; %bb.29:
	v_mul_f32_e32 v3, v7, v7
	s_mov_b32 s1, 0x2f309231
	v_fmaak_f32 v5, s1, v3, 0xb2d7322b
	v_fmaak_f32 v5, v3, v5, 0x3638ef1d
	;; [unrolled: 1-line block ×5, first 2 shown]
	v_fma_f32 v3, v3, v5, 1.0
.LBB8_30:
	s_or_b32 exec_lo, exec_lo, s0
.LBB8_31:
	s_or_b32 exec_lo, exec_lo, s5
	s_mov_b32 s5, exec_lo
	v_cmpx_neq_f32_e64 0x7f800000, |v8|
	s_cbranch_execz .LBB8_41
; %bb.32:
	s_mov_b32 s1, exec_lo
	v_cmpx_nlt_f32_e64 |v8|, 0.5
	s_xor_b32 s7, exec_lo, s1
	s_cbranch_execz .LBB8_38
; %bb.33:
	v_and_b32_e32 v4, 0x7fffffff, v8
                                        ; implicit-def: $vgpr6
                                        ; implicit-def: $vgpr5
	s_mov_b32 s1, exec_lo
	v_cmpx_ngt_f32_e64 0x48000000, |v8|
	s_xor_b32 s12, exec_lo, s1
	s_cbranch_execz .LBB8_35
; %bb.34:
	s_mov_b32 s0, 0x7fffff
	v_mov_b32_e32 v7, 0
	v_and_or_b32 v16, v4, s0, 0x800000
	v_lshrrev_b32_e32 v14, 23, v4
	v_mad_u64_u32 v[5:6], null, 0xfe5163ab, v16, 0
	v_add_nc_u32_e32 v15, 0xffffff88, v14
	v_cmp_lt_u32_e32 vcc_lo, 63, v15
	v_mad_u64_u32 v[10:11], null, 0x3c439041, v16, v[6:7]
	v_cndmask_b32_e64 v17, 0, 0xffffffc0, vcc_lo
	v_mov_b32_e32 v6, v11
	v_add_nc_u32_e32 v17, v17, v15
	v_mad_u64_u32 v[11:12], null, 0xdb629599, v16, v[6:7]
	v_cmp_lt_u32_e64 s0, 31, v17
	v_cndmask_b32_e64 v18, 0, 0xffffffe0, s0
	v_mov_b32_e32 v6, v12
	v_cndmask_b32_e32 v5, v11, v5, vcc_lo
	v_mad_u64_u32 v[12:13], null, 0xf534ddc0, v16, v[6:7]
	v_mov_b32_e32 v6, v13
	v_cndmask_b32_e32 v10, v12, v10, vcc_lo
	v_mad_u64_u32 v[13:14], null, 0xfc2757d1, v16, v[6:7]
	v_cndmask_b32_e64 v5, v10, v5, s0
	v_mov_b32_e32 v6, v14
	v_mad_u64_u32 v[14:15], null, 0x4e441529, v16, v[6:7]
	v_mov_b32_e32 v6, v15
	v_add_nc_u32_e32 v15, v18, v17
	v_cndmask_b32_e32 v17, v14, v12, vcc_lo
	v_mad_u64_u32 v[6:7], null, 0xa2f9836e, v16, v[6:7]
	v_cmp_lt_u32_e64 s1, 31, v15
	v_cndmask_b32_e64 v16, 0, 0xffffffe0, s1
	v_cndmask_b32_e32 v6, v6, v13, vcc_lo
	v_cndmask_b32_e32 v7, v7, v14, vcc_lo
	;; [unrolled: 1-line block ×3, first 2 shown]
	v_add_nc_u32_e32 v14, v16, v15
	v_cndmask_b32_e64 v12, v6, v17, s0
	v_cndmask_b32_e64 v6, v7, v6, s0
	;; [unrolled: 1-line block ×4, first 2 shown]
	v_sub_nc_u32_e32 v15, 32, v14
	v_cmp_eq_u32_e32 vcc_lo, 0, v14
	v_cndmask_b32_e64 v6, v6, v12, s1
	v_cndmask_b32_e64 v12, v12, v7, s1
	;; [unrolled: 1-line block ×4, first 2 shown]
	v_alignbit_b32 v16, v6, v12, v15
	v_alignbit_b32 v11, v12, v7, v15
	;; [unrolled: 1-line block ×3, first 2 shown]
	v_cndmask_b32_e32 v6, v16, v6, vcc_lo
	v_cndmask_b32_e32 v10, v11, v12, vcc_lo
	;; [unrolled: 1-line block ×3, first 2 shown]
	v_bfe_u32 v11, v6, 29, 1
	v_alignbit_b32 v12, v6, v10, 30
	v_alignbit_b32 v10, v10, v7, 30
	;; [unrolled: 1-line block ×3, first 2 shown]
	v_sub_nc_u32_e32 v13, 0, v11
	v_xor_b32_e32 v12, v12, v13
	v_xor_b32_e32 v7, v10, v13
	;; [unrolled: 1-line block ×3, first 2 shown]
	v_lshrrev_b32_e32 v13, 29, v6
	v_lshrrev_b32_e32 v6, 30, v6
	v_ffbh_u32_e32 v14, v12
	v_add_nc_u32_e32 v6, v11, v6
	v_min_u32_e32 v14, 32, v14
	v_sub_nc_u32_e32 v10, 31, v14
	v_lshlrev_b32_e32 v15, 23, v14
	v_alignbit_b32 v12, v12, v7, v10
	v_alignbit_b32 v5, v7, v5, v10
	v_lshlrev_b32_e32 v7, 31, v13
	v_alignbit_b32 v10, v12, v5, 9
	v_or_b32_e32 v13, 0.5, v7
	v_lshrrev_b32_e32 v12, 9, v12
	v_or_b32_e32 v7, 0x33000000, v7
	v_ffbh_u32_e32 v16, v10
	v_sub_nc_u32_e32 v13, v13, v15
	v_min_u32_e32 v15, 32, v16
	v_or_b32_e32 v12, v12, v13
	v_not_b32_e32 v13, v15
	v_mul_f32_e32 v16, 0x3fc90fda, v12
	v_add_lshl_u32 v14, v15, v14, 23
	v_alignbit_b32 v5, v10, v5, v13
	v_fma_f32 v10, 0x3fc90fda, v12, -v16
	v_sub_nc_u32_e32 v7, v7, v14
	v_lshrrev_b32_e32 v5, 9, v5
	v_fmamk_f32 v10, v12, 0x33a22168, v10
	v_or_b32_e32 v5, v7, v5
	v_fmac_f32_e32 v10, 0x3fc90fda, v5
	v_add_f32_e32 v5, v16, v10
.LBB8_35:
	s_andn2_saveexec_b32 s0, s12
; %bb.36:
	v_mul_f32_e64 v5, 0x3f22f983, |v8|
	v_rndne_f32_e32 v6, v5
	v_fma_f32 v5, 0xbfc90fda, v6, |v8|
	v_fmamk_f32 v5, v6, 0xb3a22168, v5
	v_fmamk_f32 v5, v6, 0xa7c234c4, v5
	v_cvt_i32_f32_e32 v6, v6
; %bb.37:
	s_or_b32 exec_lo, exec_lo, s0
	v_mul_f32_e32 v7, v5, v5
	s_mov_b32 s0, 0xb94c1982
	s_mov_b32 s1, 0x37d75334
	v_and_b32_e32 v12, 1, v6
	v_lshlrev_b32_e32 v6, 30, v6
	v_fmaak_f32 v10, s0, v7, 0x3c0881c4
	v_fmaak_f32 v11, s1, v7, 0xbab64f3b
	v_xor_b32_e32 v4, v4, v8
	v_cmp_eq_u32_e32 vcc_lo, 0, v12
	v_and_b32_e32 v6, 0x80000000, v6
	v_fmaak_f32 v10, v7, v10, 0xbe2aaa9d
	v_fmaak_f32 v11, v7, v11, 0x3d2aabf7
	v_mul_f32_e32 v10, v7, v10
	v_fmaak_f32 v11, v7, v11, 0xbf000004
	v_fmac_f32_e32 v5, v5, v10
	v_fma_f32 v7, v7, v11, 1.0
	v_cndmask_b32_e32 v5, v7, v5, vcc_lo
	v_cmp_class_f32_e64 vcc_lo, v8, 0x1f8
	v_xor3_b32 v4, v4, v6, v5
	v_cndmask_b32_e32 v4, 0x7fc00000, v4, vcc_lo
	v_div_scale_f32 v5, null, v8, v8, v4
	v_rcp_f32_e32 v6, v5
	v_fma_f32 v7, -v5, v6, 1.0
	v_fmac_f32_e32 v6, v7, v6
	v_div_scale_f32 v7, vcc_lo, v4, v8, v4
	v_mul_f32_e32 v10, v7, v6
	v_fma_f32 v11, -v5, v10, v7
	v_fmac_f32_e32 v10, v11, v6
	v_fma_f32 v5, -v5, v10, v7
	v_div_fmas_f32 v5, v5, v6, v10
	v_div_fixup_f32 v4, v5, v8, v4
                                        ; implicit-def: $vgpr5_vgpr6_vgpr7_vgpr8
.LBB8_38:
	s_andn2_saveexec_b32 s0, s7
	s_cbranch_execz .LBB8_40
; %bb.39:
	v_mul_f32_e32 v4, v8, v8
	s_mov_b32 s1, 0x2f309231
	v_fmaak_f32 v5, s1, v4, 0xb2d7322b
	v_fmaak_f32 v5, v4, v5, 0x3638ef1d
	;; [unrolled: 1-line block ×5, first 2 shown]
	v_fma_f32 v4, v4, v5, 1.0
.LBB8_40:
	s_or_b32 exec_lo, exec_lo, s0
.LBB8_41:
	s_or_b32 exec_lo, exec_lo, s5
	s_add_u32 s2, s8, s2
	s_addc_u32 s3, s9, s3
	s_mov_b32 s0, 0
	global_store_dwordx4 v9, v[1:4], s[2:3]
.LBB8_42:
	s_and_b32 vcc_lo, exec_lo, s0
	s_cbranch_vccz .LBB8_93
; %bb.43:
	v_cmp_gt_i32_e64 s0, s6, v0
	v_mov_b32_e32 v10, 0
	v_or_b32_e32 v6, s4, v0
	v_or_b32_e32 v8, 0x100, v0
	v_mov_b32_e32 v5, 0
	v_mov_b32_e32 v1, v0
	s_and_saveexec_b32 s1, s0
	s_cbranch_execz .LBB8_45
; %bb.44:
	v_mov_b32_e32 v7, 0
	v_lshlrev_b64 v[1:2], 2, v[6:7]
	v_add_co_u32 v1, vcc_lo, s10, v1
	v_add_co_ci_u32_e64 v2, null, s11, v2, vcc_lo
	global_load_dword v5, v[1:2], off
	v_or_b32_e32 v1, 0x100, v0
.LBB8_45:
	s_or_b32 exec_lo, exec_lo, s1
	s_mov_b32 s1, exec_lo
	v_cmpx_gt_i32_e64 s6, v1
	s_cbranch_execz .LBB8_47
; %bb.46:
	v_add_nc_u32_e32 v2, s4, v1
	v_mov_b32_e32 v3, 0
	v_add_nc_u32_e32 v1, 0x100, v1
	v_lshlrev_b64 v[2:3], 2, v[2:3]
	v_add_co_u32 v2, vcc_lo, s10, v2
	v_add_co_ci_u32_e64 v3, null, s11, v3, vcc_lo
	global_load_dword v10, v[2:3], off
.LBB8_47:
	s_or_b32 exec_lo, exec_lo, s1
	v_mov_b32_e32 v7, 0
	v_mov_b32_e32 v9, 0
	s_mov_b32 s1, exec_lo
	v_cmpx_gt_i32_e64 s6, v1
	s_cbranch_execz .LBB8_49
; %bb.48:
	v_add_nc_u32_e32 v2, s4, v1
	v_mov_b32_e32 v3, 0
	v_add_nc_u32_e32 v1, 0x100, v1
	v_lshlrev_b64 v[2:3], 2, v[2:3]
	v_add_co_u32 v2, vcc_lo, s10, v2
	v_add_co_ci_u32_e64 v3, null, s11, v3, vcc_lo
	global_load_dword v9, v[2:3], off
.LBB8_49:
	s_or_b32 exec_lo, exec_lo, s1
	s_mov_b32 s1, exec_lo
	v_cmpx_gt_i32_e64 s6, v1
	s_cbranch_execz .LBB8_51
; %bb.50:
	v_add_nc_u32_e32 v1, s4, v1
	v_mov_b32_e32 v2, 0
	v_lshlrev_b64 v[1:2], 2, v[1:2]
	v_add_co_u32 v1, vcc_lo, s10, v1
	v_add_co_ci_u32_e64 v2, null, s11, v2, vcc_lo
	global_load_dword v7, v[1:2], off
.LBB8_51:
	s_or_b32 exec_lo, exec_lo, s1
	v_mov_b32_e32 v1, 0
	v_mov_b32_e32 v2, v1
	v_mov_b32_e32 v3, v1
	v_mov_b32_e32 v4, v1
	s_and_saveexec_b32 s3, s0
	s_cbranch_execz .LBB8_63
; %bb.52:
	v_mov_b32_e32 v2, 0
	s_mov_b32 s5, exec_lo
	s_waitcnt vmcnt(0)
	v_cmpx_neq_f32_e64 0x7f800000, |v5|
	s_cbranch_execz .LBB8_62
; %bb.53:
                                        ; implicit-def: $vgpr2
	s_mov_b32 s2, exec_lo
	v_cmpx_nlt_f32_e64 |v5|, 0.5
	s_xor_b32 s7, exec_lo, s2
	s_cbranch_execz .LBB8_59
; %bb.54:
	v_and_b32_e32 v2, 0x7fffffff, v5
                                        ; implicit-def: $vgpr4
                                        ; implicit-def: $vgpr3
	s_mov_b32 s2, exec_lo
	v_cmpx_ngt_f32_e64 0x48000000, |v5|
	s_xor_b32 s10, exec_lo, s2
	s_cbranch_execz .LBB8_56
; %bb.55:
	s_mov_b32 s1, 0x7fffff
	v_mov_b32_e32 v12, 0
	v_and_or_b32 v19, v2, s1, 0x800000
	v_mad_u64_u32 v[3:4], null, 0xfe5163ab, v19, 0
	v_mov_b32_e32 v11, v4
	v_lshrrev_b32_e32 v4, 23, v2
	v_mad_u64_u32 v[13:14], null, 0x3c439041, v19, v[11:12]
	v_add_nc_u32_e32 v4, 0xffffff88, v4
	v_cmp_lt_u32_e32 vcc_lo, 63, v4
	v_mov_b32_e32 v11, v14
	v_cndmask_b32_e64 v18, 0, 0xffffffc0, vcc_lo
	v_mad_u64_u32 v[14:15], null, 0xdb629599, v19, v[11:12]
	v_add_nc_u32_e32 v4, v18, v4
	v_mov_b32_e32 v11, v15
	v_cmp_lt_u32_e64 s1, 31, v4
	v_cndmask_b32_e32 v3, v14, v3, vcc_lo
	v_mad_u64_u32 v[15:16], null, 0xf534ddc0, v19, v[11:12]
	v_cndmask_b32_e64 v20, 0, 0xffffffe0, s1
	v_add_nc_u32_e32 v4, v20, v4
	v_mov_b32_e32 v11, v16
	v_cndmask_b32_e32 v13, v15, v13, vcc_lo
	v_cmp_lt_u32_e64 s2, 31, v4
	v_mad_u64_u32 v[16:17], null, 0xfc2757d1, v19, v[11:12]
	v_cndmask_b32_e64 v3, v13, v3, s1
	v_mov_b32_e32 v11, v17
	v_mad_u64_u32 v[17:18], null, 0x4e441529, v19, v[11:12]
	v_mov_b32_e32 v11, v18
	v_cndmask_b32_e64 v18, 0, 0xffffffe0, s2
	v_mad_u64_u32 v[11:12], null, 0xa2f9836e, v19, v[11:12]
	v_cndmask_b32_e32 v19, v17, v15, vcc_lo
	v_add_nc_u32_e32 v4, v18, v4
	v_cndmask_b32_e32 v11, v11, v16, vcc_lo
	v_cndmask_b32_e32 v12, v12, v17, vcc_lo
	;; [unrolled: 1-line block ×3, first 2 shown]
	v_sub_nc_u32_e32 v17, 32, v4
	v_cmp_eq_u32_e32 vcc_lo, 0, v4
	v_cndmask_b32_e64 v15, v11, v19, s1
	v_cndmask_b32_e64 v11, v12, v11, s1
	;; [unrolled: 1-line block ×8, first 2 shown]
	v_alignbit_b32 v18, v11, v15, v17
	v_alignbit_b32 v14, v15, v12, v17
	;; [unrolled: 1-line block ×3, first 2 shown]
	v_cndmask_b32_e32 v4, v18, v11, vcc_lo
	v_cndmask_b32_e32 v11, v14, v15, vcc_lo
	;; [unrolled: 1-line block ×3, first 2 shown]
	v_bfe_u32 v13, v4, 29, 1
	v_alignbit_b32 v14, v4, v11, 30
	v_alignbit_b32 v11, v11, v12, 30
	;; [unrolled: 1-line block ×3, first 2 shown]
	v_sub_nc_u32_e32 v15, 0, v13
	v_xor_b32_e32 v14, v14, v15
	v_xor_b32_e32 v11, v11, v15
	v_xor_b32_e32 v3, v3, v15
	v_lshrrev_b32_e32 v15, 29, v4
	v_lshrrev_b32_e32 v4, 30, v4
	v_ffbh_u32_e32 v16, v14
	v_add_nc_u32_e32 v4, v13, v4
	v_min_u32_e32 v16, 32, v16
	v_sub_nc_u32_e32 v12, 31, v16
	v_lshlrev_b32_e32 v17, 23, v16
	v_alignbit_b32 v14, v14, v11, v12
	v_alignbit_b32 v3, v11, v3, v12
	v_lshlrev_b32_e32 v11, 31, v15
	v_alignbit_b32 v12, v14, v3, 9
	v_or_b32_e32 v15, 0.5, v11
	v_lshrrev_b32_e32 v14, 9, v14
	v_or_b32_e32 v11, 0x33000000, v11
	v_ffbh_u32_e32 v18, v12
	v_sub_nc_u32_e32 v15, v15, v17
	v_min_u32_e32 v17, 32, v18
	v_or_b32_e32 v14, v14, v15
	v_not_b32_e32 v15, v17
	v_mul_f32_e32 v18, 0x3fc90fda, v14
	v_add_lshl_u32 v16, v17, v16, 23
	v_alignbit_b32 v3, v12, v3, v15
	v_fma_f32 v12, 0x3fc90fda, v14, -v18
	v_sub_nc_u32_e32 v11, v11, v16
	v_lshrrev_b32_e32 v3, 9, v3
	v_fmamk_f32 v12, v14, 0x33a22168, v12
	v_or_b32_e32 v3, v11, v3
	v_fmac_f32_e32 v12, 0x3fc90fda, v3
	v_add_f32_e32 v3, v18, v12
.LBB8_56:
	s_andn2_saveexec_b32 s1, s10
; %bb.57:
	v_mul_f32_e64 v3, 0x3f22f983, |v5|
	v_rndne_f32_e32 v4, v3
	v_fma_f32 v3, 0xbfc90fda, v4, |v5|
	v_fmamk_f32 v3, v4, 0xb3a22168, v3
	v_fmamk_f32 v3, v4, 0xa7c234c4, v3
	v_cvt_i32_f32_e32 v4, v4
; %bb.58:
	s_or_b32 exec_lo, exec_lo, s1
	v_mul_f32_e32 v11, v3, v3
	s_mov_b32 s1, 0xb94c1982
	s_mov_b32 s2, 0x37d75334
	v_and_b32_e32 v14, 1, v4
	v_lshlrev_b32_e32 v4, 30, v4
	v_fmaak_f32 v12, s1, v11, 0x3c0881c4
	v_fmaak_f32 v13, s2, v11, 0xbab64f3b
	v_xor_b32_e32 v2, v2, v5
	v_cmp_eq_u32_e32 vcc_lo, 0, v14
	v_and_b32_e32 v4, 0x80000000, v4
	v_fmaak_f32 v12, v11, v12, 0xbe2aaa9d
	v_fmaak_f32 v13, v11, v13, 0x3d2aabf7
	v_mul_f32_e32 v12, v11, v12
	v_fmaak_f32 v13, v11, v13, 0xbf000004
	v_fmac_f32_e32 v3, v3, v12
	v_fma_f32 v11, v11, v13, 1.0
	v_cndmask_b32_e32 v3, v11, v3, vcc_lo
	v_cmp_class_f32_e64 vcc_lo, v5, 0x1f8
	v_xor3_b32 v2, v2, v4, v3
	v_cndmask_b32_e32 v2, 0x7fc00000, v2, vcc_lo
	v_div_scale_f32 v3, null, v5, v5, v2
	v_rcp_f32_e32 v4, v3
	v_fma_f32 v11, -v3, v4, 1.0
	v_fmac_f32_e32 v4, v11, v4
	v_div_scale_f32 v11, vcc_lo, v2, v5, v2
	v_mul_f32_e32 v12, v11, v4
	v_fma_f32 v13, -v3, v12, v11
	v_fmac_f32_e32 v12, v13, v4
	v_fma_f32 v3, -v3, v12, v11
	v_div_fmas_f32 v3, v3, v4, v12
	v_div_fixup_f32 v2, v3, v5, v2
                                        ; implicit-def: $vgpr5
.LBB8_59:
	s_andn2_saveexec_b32 s1, s7
	s_cbranch_execz .LBB8_61
; %bb.60:
	v_mul_f32_e32 v2, v5, v5
	s_mov_b32 s2, 0x2f309231
	v_fmaak_f32 v3, s2, v2, 0xb2d7322b
	v_fmaak_f32 v3, v2, v3, 0x3638ef1d
	;; [unrolled: 1-line block ×5, first 2 shown]
	v_fma_f32 v2, v2, v3, 1.0
.LBB8_61:
	s_or_b32 exec_lo, exec_lo, s1
.LBB8_62:
	s_or_b32 exec_lo, exec_lo, s5
	v_mov_b32_e32 v5, v1
	v_mov_b32_e32 v3, v1
	;; [unrolled: 1-line block ×7, first 2 shown]
.LBB8_63:
	s_or_b32 exec_lo, exec_lo, s3
	s_mov_b32 s3, exec_lo
	v_cmpx_gt_i32_e64 s6, v8
	s_cbranch_execz .LBB8_75
; %bb.64:
	v_mov_b32_e32 v2, 0
	s_mov_b32 s5, exec_lo
	s_waitcnt vmcnt(0)
	v_cmpx_neq_f32_e64 0x7f800000, |v10|
	s_cbranch_execz .LBB8_74
; %bb.65:
	s_mov_b32 s2, exec_lo
	v_cmpx_nlt_f32_e64 |v10|, 0.5
	s_xor_b32 s7, exec_lo, s2
	s_cbranch_execz .LBB8_71
; %bb.66:
	v_and_b32_e32 v2, 0x7fffffff, v10
                                        ; implicit-def: $vgpr11
                                        ; implicit-def: $vgpr5
	s_mov_b32 s2, exec_lo
	v_cmpx_ngt_f32_e64 0x48000000, |v10|
	s_xor_b32 s10, exec_lo, s2
	s_cbranch_execz .LBB8_68
; %bb.67:
	s_mov_b32 s1, 0x7fffff
	v_mov_b32_e32 v13, 0
	v_and_or_b32 v5, v2, s1, 0x800000
	v_lshrrev_b32_e32 v18, 23, v2
	v_mad_u64_u32 v[11:12], null, 0xfe5163ab, v5, 0
	v_add_nc_u32_e32 v19, 0xffffff88, v18
	v_cmp_lt_u32_e32 vcc_lo, 63, v19
	v_mad_u64_u32 v[14:15], null, 0x3c439041, v5, v[12:13]
	v_cndmask_b32_e64 v20, 0, 0xffffffc0, vcc_lo
	v_mov_b32_e32 v12, v15
	v_add_nc_u32_e32 v20, v20, v19
	v_mad_u64_u32 v[15:16], null, 0xdb629599, v5, v[12:13]
	v_cmp_lt_u32_e64 s1, 31, v20
	v_cndmask_b32_e64 v21, 0, 0xffffffe0, s1
	v_mov_b32_e32 v12, v16
	v_cndmask_b32_e32 v11, v15, v11, vcc_lo
	v_mad_u64_u32 v[16:17], null, 0xf534ddc0, v5, v[12:13]
	v_mov_b32_e32 v12, v17
	v_cndmask_b32_e32 v14, v16, v14, vcc_lo
	v_mad_u64_u32 v[17:18], null, 0xfc2757d1, v5, v[12:13]
	v_cndmask_b32_e64 v11, v14, v11, s1
	v_mov_b32_e32 v12, v18
	v_mad_u64_u32 v[18:19], null, 0x4e441529, v5, v[12:13]
	v_mov_b32_e32 v12, v19
	v_add_nc_u32_e32 v19, v21, v20
	v_cndmask_b32_e32 v20, v18, v16, vcc_lo
	v_mad_u64_u32 v[12:13], null, 0xa2f9836e, v5, v[12:13]
	v_cmp_lt_u32_e64 s2, 31, v19
	v_cndmask_b32_e64 v5, 0, 0xffffffe0, s2
	v_cndmask_b32_e32 v12, v12, v17, vcc_lo
	v_cndmask_b32_e32 v13, v13, v18, vcc_lo
	;; [unrolled: 1-line block ×3, first 2 shown]
	v_add_nc_u32_e32 v5, v5, v19
	v_cndmask_b32_e64 v16, v12, v20, s1
	v_cndmask_b32_e64 v12, v13, v12, s1
	;; [unrolled: 1-line block ×4, first 2 shown]
	v_sub_nc_u32_e32 v18, 32, v5
	v_cmp_eq_u32_e32 vcc_lo, 0, v5
	v_cndmask_b32_e64 v12, v12, v16, s2
	v_cndmask_b32_e64 v16, v16, v13, s2
	;; [unrolled: 1-line block ×4, first 2 shown]
	v_alignbit_b32 v19, v12, v16, v18
	v_alignbit_b32 v15, v16, v13, v18
	v_alignbit_b32 v17, v13, v11, v18
	v_cndmask_b32_e32 v5, v19, v12, vcc_lo
	v_cndmask_b32_e32 v12, v15, v16, vcc_lo
	;; [unrolled: 1-line block ×3, first 2 shown]
	v_bfe_u32 v14, v5, 29, 1
	v_alignbit_b32 v15, v5, v12, 30
	v_alignbit_b32 v12, v12, v13, 30
	;; [unrolled: 1-line block ×3, first 2 shown]
	v_sub_nc_u32_e32 v16, 0, v14
	v_xor_b32_e32 v15, v15, v16
	v_xor_b32_e32 v12, v12, v16
	v_xor_b32_e32 v11, v11, v16
	v_lshrrev_b32_e32 v16, 29, v5
	v_ffbh_u32_e32 v17, v15
	v_min_u32_e32 v17, 32, v17
	v_sub_nc_u32_e32 v13, 31, v17
	v_lshlrev_b32_e32 v18, 23, v17
	v_alignbit_b32 v15, v15, v12, v13
	v_alignbit_b32 v11, v12, v11, v13
	v_lshlrev_b32_e32 v12, 31, v16
	v_alignbit_b32 v13, v15, v11, 9
	v_or_b32_e32 v16, 0.5, v12
	v_lshrrev_b32_e32 v15, 9, v15
	v_or_b32_e32 v12, 0x33000000, v12
	v_ffbh_u32_e32 v19, v13
	v_sub_nc_u32_e32 v16, v16, v18
	v_min_u32_e32 v18, 32, v19
	v_or_b32_e32 v15, v15, v16
	v_not_b32_e32 v16, v18
	v_mul_f32_e32 v19, 0x3fc90fda, v15
	v_add_lshl_u32 v17, v18, v17, 23
	v_alignbit_b32 v11, v13, v11, v16
	v_fma_f32 v13, 0x3fc90fda, v15, -v19
	v_sub_nc_u32_e32 v12, v12, v17
	v_lshrrev_b32_e32 v11, 9, v11
	v_fmamk_f32 v13, v15, 0x33a22168, v13
	v_or_b32_e32 v11, v12, v11
	v_fmac_f32_e32 v13, 0x3fc90fda, v11
	v_lshrrev_b32_e32 v11, 30, v5
	v_add_f32_e32 v5, v19, v13
	v_add_nc_u32_e32 v11, v14, v11
.LBB8_68:
	s_andn2_saveexec_b32 s1, s10
; %bb.69:
	v_mul_f32_e64 v5, 0x3f22f983, |v10|
	v_rndne_f32_e32 v11, v5
	v_fma_f32 v5, 0xbfc90fda, v11, |v10|
	v_fmamk_f32 v5, v11, 0xb3a22168, v5
	v_fmamk_f32 v5, v11, 0xa7c234c4, v5
	v_cvt_i32_f32_e32 v11, v11
; %bb.70:
	s_or_b32 exec_lo, exec_lo, s1
	v_mul_f32_e32 v12, v5, v5
	s_mov_b32 s1, 0xb94c1982
	s_mov_b32 s2, 0x37d75334
	v_and_b32_e32 v15, 1, v11
	v_lshlrev_b32_e32 v11, 30, v11
	v_fmaak_f32 v13, s1, v12, 0x3c0881c4
	v_fmaak_f32 v14, s2, v12, 0xbab64f3b
	v_xor_b32_e32 v2, v2, v10
	v_cmp_eq_u32_e32 vcc_lo, 0, v15
	v_and_b32_e32 v11, 0x80000000, v11
	v_fmaak_f32 v13, v12, v13, 0xbe2aaa9d
	v_fmaak_f32 v14, v12, v14, 0x3d2aabf7
	v_mul_f32_e32 v13, v12, v13
	v_fmaak_f32 v14, v12, v14, 0xbf000004
	v_fmac_f32_e32 v5, v5, v13
	v_fma_f32 v12, v12, v14, 1.0
	v_cndmask_b32_e32 v5, v12, v5, vcc_lo
	v_cmp_class_f32_e64 vcc_lo, v10, 0x1f8
	v_xor3_b32 v2, v2, v11, v5
	v_cndmask_b32_e32 v2, 0x7fc00000, v2, vcc_lo
	v_div_scale_f32 v5, null, v10, v10, v2
	v_rcp_f32_e32 v11, v5
	v_fma_f32 v12, -v5, v11, 1.0
	v_fmac_f32_e32 v11, v12, v11
	v_div_scale_f32 v12, vcc_lo, v2, v10, v2
	v_mul_f32_e32 v13, v12, v11
	v_fma_f32 v14, -v5, v13, v12
	v_fmac_f32_e32 v13, v14, v11
	v_fma_f32 v5, -v5, v13, v12
	v_div_fmas_f32 v5, v5, v11, v13
	v_div_fixup_f32 v2, v5, v10, v2
                                        ; implicit-def: $vgpr10
.LBB8_71:
	s_andn2_saveexec_b32 s1, s7
	s_cbranch_execz .LBB8_73
; %bb.72:
	v_mul_f32_e32 v2, v10, v10
	s_mov_b32 s2, 0x2f309231
	v_fmaak_f32 v5, s2, v2, 0xb2d7322b
	v_fmaak_f32 v5, v2, v5, 0x3638ef1d
	;; [unrolled: 1-line block ×5, first 2 shown]
	v_fma_f32 v2, v2, v5, 1.0
.LBB8_73:
	s_or_b32 exec_lo, exec_lo, s1
.LBB8_74:
	s_or_b32 exec_lo, exec_lo, s5
.LBB8_75:
	s_or_b32 exec_lo, exec_lo, s3
	s_waitcnt vmcnt(0)
	v_or_b32_e32 v5, 0x200, v0
	s_mov_b32 s3, exec_lo
	v_cmpx_gt_i32_e64 s6, v5
	s_cbranch_execz .LBB8_87
; %bb.76:
	v_mov_b32_e32 v3, 0
	s_mov_b32 s5, exec_lo
	v_cmpx_neq_f32_e64 0x7f800000, |v9|
	s_cbranch_execz .LBB8_86
; %bb.77:
	s_mov_b32 s2, exec_lo
	v_cmpx_nlt_f32_e64 |v9|, 0.5
	s_xor_b32 s7, exec_lo, s2
	s_cbranch_execz .LBB8_83
; %bb.78:
	v_and_b32_e32 v3, 0x7fffffff, v9
                                        ; implicit-def: $vgpr10
                                        ; implicit-def: $vgpr5
	s_mov_b32 s2, exec_lo
	v_cmpx_ngt_f32_e64 0x48000000, |v9|
	s_xor_b32 s10, exec_lo, s2
	s_cbranch_execz .LBB8_80
; %bb.79:
	s_mov_b32 s1, 0x7fffff
	v_mov_b32_e32 v12, 0
	v_and_or_b32 v5, v3, s1, 0x800000
	v_lshrrev_b32_e32 v17, 23, v3
	v_mad_u64_u32 v[10:11], null, 0xfe5163ab, v5, 0
	v_add_nc_u32_e32 v18, 0xffffff88, v17
	v_cmp_lt_u32_e32 vcc_lo, 63, v18
	v_mad_u64_u32 v[13:14], null, 0x3c439041, v5, v[11:12]
	v_cndmask_b32_e64 v19, 0, 0xffffffc0, vcc_lo
	v_mov_b32_e32 v11, v14
	v_add_nc_u32_e32 v19, v19, v18
	v_mad_u64_u32 v[14:15], null, 0xdb629599, v5, v[11:12]
	v_cmp_lt_u32_e64 s1, 31, v19
	v_cndmask_b32_e64 v20, 0, 0xffffffe0, s1
	v_mov_b32_e32 v11, v15
	v_cndmask_b32_e32 v10, v14, v10, vcc_lo
	v_mad_u64_u32 v[15:16], null, 0xf534ddc0, v5, v[11:12]
	v_mov_b32_e32 v11, v16
	v_cndmask_b32_e32 v13, v15, v13, vcc_lo
	v_mad_u64_u32 v[16:17], null, 0xfc2757d1, v5, v[11:12]
	v_cndmask_b32_e64 v10, v13, v10, s1
	v_mov_b32_e32 v11, v17
	v_mad_u64_u32 v[17:18], null, 0x4e441529, v5, v[11:12]
	v_mov_b32_e32 v11, v18
	v_add_nc_u32_e32 v18, v20, v19
	v_cndmask_b32_e32 v19, v17, v15, vcc_lo
	v_mad_u64_u32 v[11:12], null, 0xa2f9836e, v5, v[11:12]
	v_cmp_lt_u32_e64 s2, 31, v18
	v_cndmask_b32_e64 v5, 0, 0xffffffe0, s2
	v_cndmask_b32_e32 v11, v11, v16, vcc_lo
	v_cndmask_b32_e32 v12, v12, v17, vcc_lo
	;; [unrolled: 1-line block ×3, first 2 shown]
	v_add_nc_u32_e32 v5, v5, v18
	v_cndmask_b32_e64 v15, v11, v19, s1
	v_cndmask_b32_e64 v11, v12, v11, s1
	;; [unrolled: 1-line block ×4, first 2 shown]
	v_sub_nc_u32_e32 v17, 32, v5
	v_cmp_eq_u32_e32 vcc_lo, 0, v5
	v_cndmask_b32_e64 v11, v11, v15, s2
	v_cndmask_b32_e64 v15, v15, v12, s2
	;; [unrolled: 1-line block ×4, first 2 shown]
	v_alignbit_b32 v18, v11, v15, v17
	v_alignbit_b32 v14, v15, v12, v17
	;; [unrolled: 1-line block ×3, first 2 shown]
	v_cndmask_b32_e32 v5, v18, v11, vcc_lo
	v_cndmask_b32_e32 v11, v14, v15, vcc_lo
	v_cndmask_b32_e32 v12, v16, v12, vcc_lo
	v_bfe_u32 v13, v5, 29, 1
	v_alignbit_b32 v14, v5, v11, 30
	v_alignbit_b32 v11, v11, v12, 30
	v_alignbit_b32 v10, v12, v10, 30
	v_sub_nc_u32_e32 v15, 0, v13
	v_xor_b32_e32 v14, v14, v15
	v_xor_b32_e32 v11, v11, v15
	;; [unrolled: 1-line block ×3, first 2 shown]
	v_lshrrev_b32_e32 v15, 29, v5
	v_ffbh_u32_e32 v16, v14
	v_min_u32_e32 v16, 32, v16
	v_sub_nc_u32_e32 v12, 31, v16
	v_lshlrev_b32_e32 v17, 23, v16
	v_alignbit_b32 v14, v14, v11, v12
	v_alignbit_b32 v10, v11, v10, v12
	v_lshlrev_b32_e32 v11, 31, v15
	v_alignbit_b32 v12, v14, v10, 9
	v_or_b32_e32 v15, 0.5, v11
	v_lshrrev_b32_e32 v14, 9, v14
	v_or_b32_e32 v11, 0x33000000, v11
	v_ffbh_u32_e32 v18, v12
	v_sub_nc_u32_e32 v15, v15, v17
	v_min_u32_e32 v17, 32, v18
	v_or_b32_e32 v14, v14, v15
	v_not_b32_e32 v15, v17
	v_mul_f32_e32 v18, 0x3fc90fda, v14
	v_add_lshl_u32 v16, v17, v16, 23
	v_alignbit_b32 v10, v12, v10, v15
	v_fma_f32 v12, 0x3fc90fda, v14, -v18
	v_sub_nc_u32_e32 v11, v11, v16
	v_lshrrev_b32_e32 v10, 9, v10
	v_fmamk_f32 v12, v14, 0x33a22168, v12
	v_or_b32_e32 v10, v11, v10
	v_fmac_f32_e32 v12, 0x3fc90fda, v10
	v_lshrrev_b32_e32 v10, 30, v5
	v_add_f32_e32 v5, v18, v12
	v_add_nc_u32_e32 v10, v13, v10
.LBB8_80:
	s_andn2_saveexec_b32 s1, s10
; %bb.81:
	v_mul_f32_e64 v5, 0x3f22f983, |v9|
	v_rndne_f32_e32 v10, v5
	v_fma_f32 v5, 0xbfc90fda, v10, |v9|
	v_fmamk_f32 v5, v10, 0xb3a22168, v5
	v_fmamk_f32 v5, v10, 0xa7c234c4, v5
	v_cvt_i32_f32_e32 v10, v10
; %bb.82:
	s_or_b32 exec_lo, exec_lo, s1
	v_mul_f32_e32 v11, v5, v5
	s_mov_b32 s1, 0xb94c1982
	s_mov_b32 s2, 0x37d75334
	v_and_b32_e32 v14, 1, v10
	v_lshlrev_b32_e32 v10, 30, v10
	v_fmaak_f32 v12, s1, v11, 0x3c0881c4
	v_fmaak_f32 v13, s2, v11, 0xbab64f3b
	v_xor_b32_e32 v3, v3, v9
	v_cmp_eq_u32_e32 vcc_lo, 0, v14
	v_and_b32_e32 v10, 0x80000000, v10
	v_fmaak_f32 v12, v11, v12, 0xbe2aaa9d
	v_fmaak_f32 v13, v11, v13, 0x3d2aabf7
	v_mul_f32_e32 v12, v11, v12
	v_fmaak_f32 v13, v11, v13, 0xbf000004
	v_fmac_f32_e32 v5, v5, v12
	v_fma_f32 v11, v11, v13, 1.0
	v_cndmask_b32_e32 v5, v11, v5, vcc_lo
	v_cmp_class_f32_e64 vcc_lo, v9, 0x1f8
	v_xor3_b32 v3, v3, v10, v5
	v_cndmask_b32_e32 v3, 0x7fc00000, v3, vcc_lo
	v_div_scale_f32 v5, null, v9, v9, v3
	v_rcp_f32_e32 v10, v5
	v_fma_f32 v11, -v5, v10, 1.0
	v_fmac_f32_e32 v10, v11, v10
	v_div_scale_f32 v11, vcc_lo, v3, v9, v3
	v_mul_f32_e32 v12, v11, v10
	v_fma_f32 v13, -v5, v12, v11
	v_fmac_f32_e32 v12, v13, v10
	v_fma_f32 v5, -v5, v12, v11
	v_div_fmas_f32 v5, v5, v10, v12
	v_div_fixup_f32 v3, v5, v9, v3
                                        ; implicit-def: $vgpr9
.LBB8_83:
	s_andn2_saveexec_b32 s1, s7
	s_cbranch_execz .LBB8_85
; %bb.84:
	v_mul_f32_e32 v3, v9, v9
	s_mov_b32 s2, 0x2f309231
	v_fmaak_f32 v5, s2, v3, 0xb2d7322b
	v_fmaak_f32 v5, v3, v5, 0x3638ef1d
	v_fmaak_f32 v5, v3, v5, 0xb9500d01
	v_fmaak_f32 v5, v3, v5, 0x3c088889
	v_fmaak_f32 v5, v3, v5, 0xbe2aaaab
	v_fma_f32 v3, v3, v5, 1.0
.LBB8_85:
	s_or_b32 exec_lo, exec_lo, s1
.LBB8_86:
	s_or_b32 exec_lo, exec_lo, s5
.LBB8_87:
	s_or_b32 exec_lo, exec_lo, s3
	v_or_b32_e32 v5, 0x300, v0
	s_mov_b32 s3, exec_lo
	v_cmpx_gt_i32_e64 s6, v5
	s_cbranch_execnz .LBB8_94
; %bb.88:
	s_or_b32 exec_lo, exec_lo, s3
	s_and_saveexec_b32 s1, s0
	s_xor_b32 s0, exec_lo, s1
	s_cbranch_execnz .LBB8_105
.LBB8_89:
	s_or_b32 exec_lo, exec_lo, s0
	s_mov_b32 s0, exec_lo
	v_cmpx_gt_i32_e64 s6, v0
	s_cbranch_execnz .LBB8_106
.LBB8_90:
	s_or_b32 exec_lo, exec_lo, s0
	s_mov_b32 s0, exec_lo
	v_cmpx_gt_i32_e64 s6, v0
	s_cbranch_execnz .LBB8_107
.LBB8_91:
	s_or_b32 exec_lo, exec_lo, s0
	s_mov_b32 s0, exec_lo
	v_cmpx_gt_i32_e64 s6, v0
	s_cbranch_execz .LBB8_93
.LBB8_92:
	v_add_nc_u32_e32 v0, s4, v0
	v_mov_b32_e32 v1, 0
	v_lshlrev_b64 v[0:1], 2, v[0:1]
	v_add_co_u32 v0, vcc_lo, s8, v0
	v_add_co_ci_u32_e64 v1, null, s9, v1, vcc_lo
	global_store_dword v[0:1], v4, off
.LBB8_93:
	s_endpgm
.LBB8_94:
	v_mov_b32_e32 v4, 0
	s_mov_b32 s5, exec_lo
	v_cmpx_neq_f32_e64 0x7f800000, |v7|
	s_cbranch_execz .LBB8_104
; %bb.95:
	s_mov_b32 s2, exec_lo
	v_cmpx_nlt_f32_e64 |v7|, 0.5
	s_xor_b32 s7, exec_lo, s2
	s_cbranch_execz .LBB8_101
; %bb.96:
	v_and_b32_e32 v4, 0x7fffffff, v7
                                        ; implicit-def: $vgpr9
                                        ; implicit-def: $vgpr5
	s_mov_b32 s2, exec_lo
	v_cmpx_ngt_f32_e64 0x48000000, |v7|
	s_xor_b32 s10, exec_lo, s2
	s_cbranch_execz .LBB8_98
; %bb.97:
	s_mov_b32 s1, 0x7fffff
	v_mov_b32_e32 v11, 0
	v_and_or_b32 v5, v4, s1, 0x800000
	v_lshrrev_b32_e32 v16, 23, v4
	v_mad_u64_u32 v[9:10], null, 0xfe5163ab, v5, 0
	v_add_nc_u32_e32 v17, 0xffffff88, v16
	v_cmp_lt_u32_e32 vcc_lo, 63, v17
	v_mad_u64_u32 v[12:13], null, 0x3c439041, v5, v[10:11]
	v_cndmask_b32_e64 v18, 0, 0xffffffc0, vcc_lo
	v_mov_b32_e32 v10, v13
	v_add_nc_u32_e32 v18, v18, v17
	v_mad_u64_u32 v[13:14], null, 0xdb629599, v5, v[10:11]
	v_cmp_lt_u32_e64 s1, 31, v18
	v_cndmask_b32_e64 v19, 0, 0xffffffe0, s1
	v_mov_b32_e32 v10, v14
	v_cndmask_b32_e32 v9, v13, v9, vcc_lo
	v_mad_u64_u32 v[14:15], null, 0xf534ddc0, v5, v[10:11]
	v_mov_b32_e32 v10, v15
	v_cndmask_b32_e32 v12, v14, v12, vcc_lo
	v_mad_u64_u32 v[15:16], null, 0xfc2757d1, v5, v[10:11]
	v_cndmask_b32_e64 v9, v12, v9, s1
	v_mov_b32_e32 v10, v16
	v_mad_u64_u32 v[16:17], null, 0x4e441529, v5, v[10:11]
	v_mov_b32_e32 v10, v17
	v_add_nc_u32_e32 v17, v19, v18
	v_cndmask_b32_e32 v18, v16, v14, vcc_lo
	v_mad_u64_u32 v[10:11], null, 0xa2f9836e, v5, v[10:11]
	v_cmp_lt_u32_e64 s2, 31, v17
	v_cndmask_b32_e64 v5, 0, 0xffffffe0, s2
	v_cndmask_b32_e32 v10, v10, v15, vcc_lo
	v_cndmask_b32_e32 v11, v11, v16, vcc_lo
	;; [unrolled: 1-line block ×3, first 2 shown]
	v_add_nc_u32_e32 v5, v5, v17
	v_cndmask_b32_e64 v14, v10, v18, s1
	v_cndmask_b32_e64 v10, v11, v10, s1
	;; [unrolled: 1-line block ×4, first 2 shown]
	v_sub_nc_u32_e32 v16, 32, v5
	v_cmp_eq_u32_e32 vcc_lo, 0, v5
	v_cndmask_b32_e64 v10, v10, v14, s2
	v_cndmask_b32_e64 v14, v14, v11, s2
	;; [unrolled: 1-line block ×4, first 2 shown]
	v_alignbit_b32 v17, v10, v14, v16
	v_alignbit_b32 v13, v14, v11, v16
	;; [unrolled: 1-line block ×3, first 2 shown]
	v_cndmask_b32_e32 v5, v17, v10, vcc_lo
	v_cndmask_b32_e32 v10, v13, v14, vcc_lo
	;; [unrolled: 1-line block ×3, first 2 shown]
	v_bfe_u32 v12, v5, 29, 1
	v_alignbit_b32 v13, v5, v10, 30
	v_alignbit_b32 v10, v10, v11, 30
	;; [unrolled: 1-line block ×3, first 2 shown]
	v_sub_nc_u32_e32 v14, 0, v12
	v_xor_b32_e32 v13, v13, v14
	v_xor_b32_e32 v10, v10, v14
	;; [unrolled: 1-line block ×3, first 2 shown]
	v_lshrrev_b32_e32 v14, 29, v5
	v_ffbh_u32_e32 v15, v13
	v_min_u32_e32 v15, 32, v15
	v_sub_nc_u32_e32 v11, 31, v15
	v_lshlrev_b32_e32 v16, 23, v15
	v_alignbit_b32 v13, v13, v10, v11
	v_alignbit_b32 v9, v10, v9, v11
	v_lshlrev_b32_e32 v10, 31, v14
	v_alignbit_b32 v11, v13, v9, 9
	v_or_b32_e32 v14, 0.5, v10
	v_lshrrev_b32_e32 v13, 9, v13
	v_or_b32_e32 v10, 0x33000000, v10
	v_ffbh_u32_e32 v17, v11
	v_sub_nc_u32_e32 v14, v14, v16
	v_min_u32_e32 v16, 32, v17
	v_or_b32_e32 v13, v13, v14
	v_not_b32_e32 v14, v16
	v_mul_f32_e32 v17, 0x3fc90fda, v13
	v_add_lshl_u32 v15, v16, v15, 23
	v_alignbit_b32 v9, v11, v9, v14
	v_fma_f32 v11, 0x3fc90fda, v13, -v17
	v_sub_nc_u32_e32 v10, v10, v15
	v_lshrrev_b32_e32 v9, 9, v9
	v_fmamk_f32 v11, v13, 0x33a22168, v11
	v_or_b32_e32 v9, v10, v9
	v_fmac_f32_e32 v11, 0x3fc90fda, v9
	v_lshrrev_b32_e32 v9, 30, v5
	v_add_f32_e32 v5, v17, v11
	v_add_nc_u32_e32 v9, v12, v9
.LBB8_98:
	s_andn2_saveexec_b32 s1, s10
; %bb.99:
	v_mul_f32_e64 v5, 0x3f22f983, |v7|
	v_rndne_f32_e32 v9, v5
	v_fma_f32 v5, 0xbfc90fda, v9, |v7|
	v_fmamk_f32 v5, v9, 0xb3a22168, v5
	v_fmamk_f32 v5, v9, 0xa7c234c4, v5
	v_cvt_i32_f32_e32 v9, v9
; %bb.100:
	s_or_b32 exec_lo, exec_lo, s1
	v_mul_f32_e32 v10, v5, v5
	s_mov_b32 s1, 0xb94c1982
	s_mov_b32 s2, 0x37d75334
	v_and_b32_e32 v13, 1, v9
	v_lshlrev_b32_e32 v9, 30, v9
	v_fmaak_f32 v11, s1, v10, 0x3c0881c4
	v_fmaak_f32 v12, s2, v10, 0xbab64f3b
	v_xor_b32_e32 v4, v4, v7
	v_cmp_eq_u32_e32 vcc_lo, 0, v13
	v_and_b32_e32 v9, 0x80000000, v9
	v_fmaak_f32 v11, v10, v11, 0xbe2aaa9d
	v_fmaak_f32 v12, v10, v12, 0x3d2aabf7
	v_mul_f32_e32 v11, v10, v11
	v_fmaak_f32 v12, v10, v12, 0xbf000004
	v_fmac_f32_e32 v5, v5, v11
	v_fma_f32 v10, v10, v12, 1.0
	v_cndmask_b32_e32 v5, v10, v5, vcc_lo
	v_cmp_class_f32_e64 vcc_lo, v7, 0x1f8
	v_xor3_b32 v4, v4, v9, v5
	v_cndmask_b32_e32 v4, 0x7fc00000, v4, vcc_lo
	v_div_scale_f32 v5, null, v7, v7, v4
	v_rcp_f32_e32 v9, v5
	v_fma_f32 v10, -v5, v9, 1.0
	v_fmac_f32_e32 v9, v10, v9
	v_div_scale_f32 v10, vcc_lo, v4, v7, v4
	v_mul_f32_e32 v11, v10, v9
	v_fma_f32 v12, -v5, v11, v10
	v_fmac_f32_e32 v11, v12, v9
	v_fma_f32 v5, -v5, v11, v10
	v_div_fmas_f32 v5, v5, v9, v11
	v_div_fixup_f32 v4, v5, v7, v4
                                        ; implicit-def: $vgpr7
.LBB8_101:
	s_andn2_saveexec_b32 s1, s7
	s_cbranch_execz .LBB8_103
; %bb.102:
	v_mul_f32_e32 v4, v7, v7
	s_mov_b32 s2, 0x2f309231
	v_fmaak_f32 v5, s2, v4, 0xb2d7322b
	v_fmaak_f32 v5, v4, v5, 0x3638ef1d
	;; [unrolled: 1-line block ×5, first 2 shown]
	v_fma_f32 v4, v4, v5, 1.0
.LBB8_103:
	s_or_b32 exec_lo, exec_lo, s1
.LBB8_104:
	s_or_b32 exec_lo, exec_lo, s5
	s_or_b32 exec_lo, exec_lo, s3
	s_and_saveexec_b32 s1, s0
	s_xor_b32 s0, exec_lo, s1
	s_cbranch_execz .LBB8_89
.LBB8_105:
	v_mov_b32_e32 v7, 0
	v_mov_b32_e32 v0, v8
	v_lshlrev_b64 v[5:6], 2, v[6:7]
	v_add_co_u32 v5, vcc_lo, s8, v5
	v_add_co_ci_u32_e64 v6, null, s9, v6, vcc_lo
	global_store_dword v[5:6], v1, off
	s_or_b32 exec_lo, exec_lo, s0
	s_mov_b32 s0, exec_lo
	v_cmpx_gt_i32_e64 s6, v0
	s_cbranch_execz .LBB8_90
.LBB8_106:
	v_add_nc_u32_e32 v5, s4, v0
	v_mov_b32_e32 v6, 0
	v_add_nc_u32_e32 v0, 0x100, v0
	v_lshlrev_b64 v[5:6], 2, v[5:6]
	v_add_co_u32 v5, vcc_lo, s8, v5
	v_add_co_ci_u32_e64 v6, null, s9, v6, vcc_lo
	global_store_dword v[5:6], v2, off
	s_or_b32 exec_lo, exec_lo, s0
	s_mov_b32 s0, exec_lo
	v_cmpx_gt_i32_e64 s6, v0
	s_cbranch_execz .LBB8_91
.LBB8_107:
	v_add_nc_u32_e32 v1, s4, v0
	v_mov_b32_e32 v2, 0
	v_add_nc_u32_e32 v0, 0x100, v0
	v_lshlrev_b64 v[1:2], 2, v[1:2]
	v_add_co_u32 v1, vcc_lo, s8, v1
	v_add_co_ci_u32_e64 v2, null, s9, v2, vcc_lo
	global_store_dword v[1:2], v3, off
	s_or_b32 exec_lo, exec_lo, s0
	s_mov_b32 s0, exec_lo
	v_cmpx_gt_i32_e64 s6, v0
	s_cbranch_execnz .LBB8_92
	s_branch .LBB8_93
	.section	.rodata,"a",@progbits
	.p2align	6, 0x0
	.amdhsa_kernel _ZN2at6native29vectorized_elementwise_kernelILi16EZZZNS0_12_GLOBAL__N_131spherical_bessel_j0_kernel_cudaERNS_18TensorIteratorBaseEENKUlvE_clEvENKUlvE0_clEvEUlfE_St5arrayIPcLm2EEEEviT0_T1_
		.amdhsa_group_segment_fixed_size 0
		.amdhsa_private_segment_fixed_size 0
		.amdhsa_kernarg_size 24
		.amdhsa_user_sgpr_count 6
		.amdhsa_user_sgpr_private_segment_buffer 1
		.amdhsa_user_sgpr_dispatch_ptr 0
		.amdhsa_user_sgpr_queue_ptr 0
		.amdhsa_user_sgpr_kernarg_segment_ptr 1
		.amdhsa_user_sgpr_dispatch_id 0
		.amdhsa_user_sgpr_flat_scratch_init 0
		.amdhsa_user_sgpr_private_segment_size 0
		.amdhsa_wavefront_size32 1
		.amdhsa_uses_dynamic_stack 0
		.amdhsa_system_sgpr_private_segment_wavefront_offset 0
		.amdhsa_system_sgpr_workgroup_id_x 1
		.amdhsa_system_sgpr_workgroup_id_y 0
		.amdhsa_system_sgpr_workgroup_id_z 0
		.amdhsa_system_sgpr_workgroup_info 0
		.amdhsa_system_vgpr_workitem_id 0
		.amdhsa_next_free_vgpr 22
		.amdhsa_next_free_sgpr 13
		.amdhsa_reserve_vcc 1
		.amdhsa_reserve_flat_scratch 0
		.amdhsa_float_round_mode_32 0
		.amdhsa_float_round_mode_16_64 0
		.amdhsa_float_denorm_mode_32 3
		.amdhsa_float_denorm_mode_16_64 3
		.amdhsa_dx10_clamp 1
		.amdhsa_ieee_mode 1
		.amdhsa_fp16_overflow 0
		.amdhsa_workgroup_processor_mode 1
		.amdhsa_memory_ordered 1
		.amdhsa_forward_progress 1
		.amdhsa_shared_vgpr_count 0
		.amdhsa_exception_fp_ieee_invalid_op 0
		.amdhsa_exception_fp_denorm_src 0
		.amdhsa_exception_fp_ieee_div_zero 0
		.amdhsa_exception_fp_ieee_overflow 0
		.amdhsa_exception_fp_ieee_underflow 0
		.amdhsa_exception_fp_ieee_inexact 0
		.amdhsa_exception_int_div_zero 0
	.end_amdhsa_kernel
	.section	.text._ZN2at6native29vectorized_elementwise_kernelILi16EZZZNS0_12_GLOBAL__N_131spherical_bessel_j0_kernel_cudaERNS_18TensorIteratorBaseEENKUlvE_clEvENKUlvE0_clEvEUlfE_St5arrayIPcLm2EEEEviT0_T1_,"axG",@progbits,_ZN2at6native29vectorized_elementwise_kernelILi16EZZZNS0_12_GLOBAL__N_131spherical_bessel_j0_kernel_cudaERNS_18TensorIteratorBaseEENKUlvE_clEvENKUlvE0_clEvEUlfE_St5arrayIPcLm2EEEEviT0_T1_,comdat
.Lfunc_end8:
	.size	_ZN2at6native29vectorized_elementwise_kernelILi16EZZZNS0_12_GLOBAL__N_131spherical_bessel_j0_kernel_cudaERNS_18TensorIteratorBaseEENKUlvE_clEvENKUlvE0_clEvEUlfE_St5arrayIPcLm2EEEEviT0_T1_, .Lfunc_end8-_ZN2at6native29vectorized_elementwise_kernelILi16EZZZNS0_12_GLOBAL__N_131spherical_bessel_j0_kernel_cudaERNS_18TensorIteratorBaseEENKUlvE_clEvENKUlvE0_clEvEUlfE_St5arrayIPcLm2EEEEviT0_T1_
                                        ; -- End function
	.set _ZN2at6native29vectorized_elementwise_kernelILi16EZZZNS0_12_GLOBAL__N_131spherical_bessel_j0_kernel_cudaERNS_18TensorIteratorBaseEENKUlvE_clEvENKUlvE0_clEvEUlfE_St5arrayIPcLm2EEEEviT0_T1_.num_vgpr, 22
	.set _ZN2at6native29vectorized_elementwise_kernelILi16EZZZNS0_12_GLOBAL__N_131spherical_bessel_j0_kernel_cudaERNS_18TensorIteratorBaseEENKUlvE_clEvENKUlvE0_clEvEUlfE_St5arrayIPcLm2EEEEviT0_T1_.num_agpr, 0
	.set _ZN2at6native29vectorized_elementwise_kernelILi16EZZZNS0_12_GLOBAL__N_131spherical_bessel_j0_kernel_cudaERNS_18TensorIteratorBaseEENKUlvE_clEvENKUlvE0_clEvEUlfE_St5arrayIPcLm2EEEEviT0_T1_.numbered_sgpr, 13
	.set _ZN2at6native29vectorized_elementwise_kernelILi16EZZZNS0_12_GLOBAL__N_131spherical_bessel_j0_kernel_cudaERNS_18TensorIteratorBaseEENKUlvE_clEvENKUlvE0_clEvEUlfE_St5arrayIPcLm2EEEEviT0_T1_.num_named_barrier, 0
	.set _ZN2at6native29vectorized_elementwise_kernelILi16EZZZNS0_12_GLOBAL__N_131spherical_bessel_j0_kernel_cudaERNS_18TensorIteratorBaseEENKUlvE_clEvENKUlvE0_clEvEUlfE_St5arrayIPcLm2EEEEviT0_T1_.private_seg_size, 0
	.set _ZN2at6native29vectorized_elementwise_kernelILi16EZZZNS0_12_GLOBAL__N_131spherical_bessel_j0_kernel_cudaERNS_18TensorIteratorBaseEENKUlvE_clEvENKUlvE0_clEvEUlfE_St5arrayIPcLm2EEEEviT0_T1_.uses_vcc, 1
	.set _ZN2at6native29vectorized_elementwise_kernelILi16EZZZNS0_12_GLOBAL__N_131spherical_bessel_j0_kernel_cudaERNS_18TensorIteratorBaseEENKUlvE_clEvENKUlvE0_clEvEUlfE_St5arrayIPcLm2EEEEviT0_T1_.uses_flat_scratch, 0
	.set _ZN2at6native29vectorized_elementwise_kernelILi16EZZZNS0_12_GLOBAL__N_131spherical_bessel_j0_kernel_cudaERNS_18TensorIteratorBaseEENKUlvE_clEvENKUlvE0_clEvEUlfE_St5arrayIPcLm2EEEEviT0_T1_.has_dyn_sized_stack, 0
	.set _ZN2at6native29vectorized_elementwise_kernelILi16EZZZNS0_12_GLOBAL__N_131spherical_bessel_j0_kernel_cudaERNS_18TensorIteratorBaseEENKUlvE_clEvENKUlvE0_clEvEUlfE_St5arrayIPcLm2EEEEviT0_T1_.has_recursion, 0
	.set _ZN2at6native29vectorized_elementwise_kernelILi16EZZZNS0_12_GLOBAL__N_131spherical_bessel_j0_kernel_cudaERNS_18TensorIteratorBaseEENKUlvE_clEvENKUlvE0_clEvEUlfE_St5arrayIPcLm2EEEEviT0_T1_.has_indirect_call, 0
	.section	.AMDGPU.csdata,"",@progbits
; Kernel info:
; codeLenInByte = 8628
; TotalNumSgprs: 15
; NumVgprs: 22
; ScratchSize: 0
; MemoryBound: 0
; FloatMode: 240
; IeeeMode: 1
; LDSByteSize: 0 bytes/workgroup (compile time only)
; SGPRBlocks: 0
; VGPRBlocks: 2
; NumSGPRsForWavesPerEU: 15
; NumVGPRsForWavesPerEU: 22
; Occupancy: 16
; WaveLimiterHint : 0
; COMPUTE_PGM_RSRC2:SCRATCH_EN: 0
; COMPUTE_PGM_RSRC2:USER_SGPR: 6
; COMPUTE_PGM_RSRC2:TRAP_HANDLER: 0
; COMPUTE_PGM_RSRC2:TGID_X_EN: 1
; COMPUTE_PGM_RSRC2:TGID_Y_EN: 0
; COMPUTE_PGM_RSRC2:TGID_Z_EN: 0
; COMPUTE_PGM_RSRC2:TIDIG_COMP_CNT: 0
	.section	.text._ZN2at6native29vectorized_elementwise_kernelILi8EZZZNS0_12_GLOBAL__N_131spherical_bessel_j0_kernel_cudaERNS_18TensorIteratorBaseEENKUlvE_clEvENKUlvE0_clEvEUlfE_St5arrayIPcLm2EEEEviT0_T1_,"axG",@progbits,_ZN2at6native29vectorized_elementwise_kernelILi8EZZZNS0_12_GLOBAL__N_131spherical_bessel_j0_kernel_cudaERNS_18TensorIteratorBaseEENKUlvE_clEvENKUlvE0_clEvEUlfE_St5arrayIPcLm2EEEEviT0_T1_,comdat
	.globl	_ZN2at6native29vectorized_elementwise_kernelILi8EZZZNS0_12_GLOBAL__N_131spherical_bessel_j0_kernel_cudaERNS_18TensorIteratorBaseEENKUlvE_clEvENKUlvE0_clEvEUlfE_St5arrayIPcLm2EEEEviT0_T1_ ; -- Begin function _ZN2at6native29vectorized_elementwise_kernelILi8EZZZNS0_12_GLOBAL__N_131spherical_bessel_j0_kernel_cudaERNS_18TensorIteratorBaseEENKUlvE_clEvENKUlvE0_clEvEUlfE_St5arrayIPcLm2EEEEviT0_T1_
	.p2align	8
	.type	_ZN2at6native29vectorized_elementwise_kernelILi8EZZZNS0_12_GLOBAL__N_131spherical_bessel_j0_kernel_cudaERNS_18TensorIteratorBaseEENKUlvE_clEvENKUlvE0_clEvEUlfE_St5arrayIPcLm2EEEEviT0_T1_,@function
_ZN2at6native29vectorized_elementwise_kernelILi8EZZZNS0_12_GLOBAL__N_131spherical_bessel_j0_kernel_cudaERNS_18TensorIteratorBaseEENKUlvE_clEvENKUlvE0_clEvEUlfE_St5arrayIPcLm2EEEEviT0_T1_: ; @_ZN2at6native29vectorized_elementwise_kernelILi8EZZZNS0_12_GLOBAL__N_131spherical_bessel_j0_kernel_cudaERNS_18TensorIteratorBaseEENKUlvE_clEvENKUlvE0_clEvEUlfE_St5arrayIPcLm2EEEEviT0_T1_
; %bb.0:
	s_clause 0x1
	s_load_dword s0, s[4:5], 0x0
	s_load_dwordx4 s[8:11], s[4:5], 0x8
	s_lshl_b32 s4, s6, 10
	s_waitcnt lgkmcnt(0)
	s_sub_i32 s6, s0, s4
	s_mov_b32 s0, -1
	s_cmpk_gt_i32 s6, 0x3ff
	s_cbranch_scc0 .LBB9_42
; %bb.1:
	s_ashr_i32 s5, s4, 31
	v_lshlrev_b32_e32 v9, 4, v0
	s_lshl_b64 s[2:3], s[4:5], 2
	v_mov_b32_e32 v2, 0
	s_add_u32 s0, s10, s2
	s_addc_u32 s1, s11, s3
	v_mov_b32_e32 v1, 0
	global_load_dwordx4 v[5:8], v9, s[0:1]
	s_mov_b32 s5, exec_lo
	s_waitcnt vmcnt(0)
	v_cmpx_neq_f32_e64 0x7f800000, |v5|
	s_cbranch_execz .LBB9_11
; %bb.2:
	s_mov_b32 s1, exec_lo
	v_cmpx_nlt_f32_e64 |v5|, 0.5
	s_xor_b32 s7, exec_lo, s1
	s_cbranch_execz .LBB9_8
; %bb.3:
	v_and_b32_e32 v1, 0x7fffffff, v5
                                        ; implicit-def: $vgpr4
                                        ; implicit-def: $vgpr3
	s_mov_b32 s1, exec_lo
	v_cmpx_ngt_f32_e64 0x48000000, |v5|
	s_xor_b32 s12, exec_lo, s1
	s_cbranch_execz .LBB9_5
; %bb.4:
	s_mov_b32 s0, 0x7fffff
	v_mov_b32_e32 v11, 0
	v_and_or_b32 v18, v1, s0, 0x800000
	v_mad_u64_u32 v[3:4], null, 0xfe5163ab, v18, 0
	v_mov_b32_e32 v10, v4
	v_lshrrev_b32_e32 v4, 23, v1
	v_mad_u64_u32 v[12:13], null, 0x3c439041, v18, v[10:11]
	v_add_nc_u32_e32 v4, 0xffffff88, v4
	v_cmp_lt_u32_e32 vcc_lo, 63, v4
	v_mov_b32_e32 v10, v13
	v_cndmask_b32_e64 v17, 0, 0xffffffc0, vcc_lo
	v_mad_u64_u32 v[13:14], null, 0xdb629599, v18, v[10:11]
	v_add_nc_u32_e32 v4, v17, v4
	v_mov_b32_e32 v10, v14
	v_cmp_lt_u32_e64 s0, 31, v4
	v_cndmask_b32_e32 v3, v13, v3, vcc_lo
	v_mad_u64_u32 v[14:15], null, 0xf534ddc0, v18, v[10:11]
	v_cndmask_b32_e64 v19, 0, 0xffffffe0, s0
	v_add_nc_u32_e32 v4, v19, v4
	v_mov_b32_e32 v10, v15
	v_cndmask_b32_e32 v12, v14, v12, vcc_lo
	v_cmp_lt_u32_e64 s1, 31, v4
	v_mad_u64_u32 v[15:16], null, 0xfc2757d1, v18, v[10:11]
	v_cndmask_b32_e64 v3, v12, v3, s0
	v_mov_b32_e32 v10, v16
	v_mad_u64_u32 v[16:17], null, 0x4e441529, v18, v[10:11]
	v_mov_b32_e32 v10, v17
	v_cndmask_b32_e64 v17, 0, 0xffffffe0, s1
	v_mad_u64_u32 v[10:11], null, 0xa2f9836e, v18, v[10:11]
	v_cndmask_b32_e32 v18, v16, v14, vcc_lo
	v_add_nc_u32_e32 v4, v17, v4
	v_cndmask_b32_e32 v10, v10, v15, vcc_lo
	v_cndmask_b32_e32 v11, v11, v16, vcc_lo
	;; [unrolled: 1-line block ×3, first 2 shown]
	v_sub_nc_u32_e32 v16, 32, v4
	v_cmp_eq_u32_e32 vcc_lo, 0, v4
	v_cndmask_b32_e64 v14, v10, v18, s0
	v_cndmask_b32_e64 v10, v11, v10, s0
	;; [unrolled: 1-line block ×8, first 2 shown]
	v_alignbit_b32 v17, v10, v14, v16
	v_alignbit_b32 v13, v14, v11, v16
	;; [unrolled: 1-line block ×3, first 2 shown]
	v_cndmask_b32_e32 v4, v17, v10, vcc_lo
	v_cndmask_b32_e32 v10, v13, v14, vcc_lo
	;; [unrolled: 1-line block ×3, first 2 shown]
	v_bfe_u32 v12, v4, 29, 1
	v_alignbit_b32 v13, v4, v10, 30
	v_alignbit_b32 v10, v10, v11, 30
	;; [unrolled: 1-line block ×3, first 2 shown]
	v_sub_nc_u32_e32 v14, 0, v12
	v_xor_b32_e32 v13, v13, v14
	v_xor_b32_e32 v10, v10, v14
	;; [unrolled: 1-line block ×3, first 2 shown]
	v_lshrrev_b32_e32 v14, 29, v4
	v_lshrrev_b32_e32 v4, 30, v4
	v_ffbh_u32_e32 v15, v13
	v_add_nc_u32_e32 v4, v12, v4
	v_min_u32_e32 v15, 32, v15
	v_sub_nc_u32_e32 v11, 31, v15
	v_lshlrev_b32_e32 v16, 23, v15
	v_alignbit_b32 v13, v13, v10, v11
	v_alignbit_b32 v3, v10, v3, v11
	v_lshlrev_b32_e32 v10, 31, v14
	v_alignbit_b32 v11, v13, v3, 9
	v_or_b32_e32 v14, 0.5, v10
	v_lshrrev_b32_e32 v13, 9, v13
	v_or_b32_e32 v10, 0x33000000, v10
	v_ffbh_u32_e32 v17, v11
	v_sub_nc_u32_e32 v14, v14, v16
	v_min_u32_e32 v16, 32, v17
	v_or_b32_e32 v13, v13, v14
	v_not_b32_e32 v14, v16
	v_mul_f32_e32 v17, 0x3fc90fda, v13
	v_add_lshl_u32 v15, v16, v15, 23
	v_alignbit_b32 v3, v11, v3, v14
	v_fma_f32 v11, 0x3fc90fda, v13, -v17
	v_sub_nc_u32_e32 v10, v10, v15
	v_lshrrev_b32_e32 v3, 9, v3
	v_fmamk_f32 v11, v13, 0x33a22168, v11
	v_or_b32_e32 v3, v10, v3
	v_fmac_f32_e32 v11, 0x3fc90fda, v3
	v_add_f32_e32 v3, v17, v11
.LBB9_5:
	s_andn2_saveexec_b32 s0, s12
; %bb.6:
	v_mul_f32_e64 v3, 0x3f22f983, |v5|
	v_rndne_f32_e32 v4, v3
	v_fma_f32 v3, 0xbfc90fda, v4, |v5|
	v_fmamk_f32 v3, v4, 0xb3a22168, v3
	v_fmamk_f32 v3, v4, 0xa7c234c4, v3
	v_cvt_i32_f32_e32 v4, v4
; %bb.7:
	s_or_b32 exec_lo, exec_lo, s0
	v_mul_f32_e32 v10, v3, v3
	s_mov_b32 s0, 0xb94c1982
	s_mov_b32 s1, 0x37d75334
	v_and_b32_e32 v13, 1, v4
	v_lshlrev_b32_e32 v4, 30, v4
	v_fmaak_f32 v11, s0, v10, 0x3c0881c4
	v_fmaak_f32 v12, s1, v10, 0xbab64f3b
	v_xor_b32_e32 v1, v1, v5
	v_cmp_eq_u32_e32 vcc_lo, 0, v13
	v_and_b32_e32 v4, 0x80000000, v4
	v_fmaak_f32 v11, v10, v11, 0xbe2aaa9d
	v_fmaak_f32 v12, v10, v12, 0x3d2aabf7
	v_mul_f32_e32 v11, v10, v11
	v_fmaak_f32 v12, v10, v12, 0xbf000004
	v_fmac_f32_e32 v3, v3, v11
	v_fma_f32 v10, v10, v12, 1.0
	v_cndmask_b32_e32 v3, v10, v3, vcc_lo
	v_cmp_class_f32_e64 vcc_lo, v5, 0x1f8
	v_xor3_b32 v1, v1, v4, v3
	v_cndmask_b32_e32 v1, 0x7fc00000, v1, vcc_lo
	v_div_scale_f32 v3, null, v5, v5, v1
	v_rcp_f32_e32 v4, v3
	v_fma_f32 v10, -v3, v4, 1.0
	v_fmac_f32_e32 v4, v10, v4
	v_div_scale_f32 v10, vcc_lo, v1, v5, v1
	v_mul_f32_e32 v11, v10, v4
	v_fma_f32 v12, -v3, v11, v10
	v_fmac_f32_e32 v11, v12, v4
	v_fma_f32 v3, -v3, v11, v10
	v_div_fmas_f32 v3, v3, v4, v11
	v_div_fixup_f32 v1, v3, v5, v1
.LBB9_8:
	s_andn2_saveexec_b32 s0, s7
	s_cbranch_execz .LBB9_10
; %bb.9:
	v_mul_f32_e32 v1, v5, v5
	s_mov_b32 s1, 0x2f309231
	v_fmaak_f32 v3, s1, v1, 0xb2d7322b
	v_fmaak_f32 v3, v1, v3, 0x3638ef1d
	;; [unrolled: 1-line block ×5, first 2 shown]
	v_fma_f32 v1, v1, v3, 1.0
.LBB9_10:
	s_or_b32 exec_lo, exec_lo, s0
.LBB9_11:
	s_or_b32 exec_lo, exec_lo, s5
	s_mov_b32 s5, exec_lo
	v_cmpx_neq_f32_e64 0x7f800000, |v6|
	s_cbranch_execz .LBB9_21
; %bb.12:
	s_mov_b32 s1, exec_lo
	v_cmpx_nlt_f32_e64 |v6|, 0.5
	s_xor_b32 s7, exec_lo, s1
	s_cbranch_execz .LBB9_18
; %bb.13:
	v_and_b32_e32 v2, 0x7fffffff, v6
                                        ; implicit-def: $vgpr4
                                        ; implicit-def: $vgpr3
	s_mov_b32 s1, exec_lo
	v_cmpx_ngt_f32_e64 0x48000000, |v6|
	s_xor_b32 s12, exec_lo, s1
	s_cbranch_execz .LBB9_15
; %bb.14:
	s_mov_b32 s0, 0x7fffff
	v_mov_b32_e32 v5, 0
	v_and_or_b32 v16, v2, s0, 0x800000
	v_lshrrev_b32_e32 v14, 23, v2
	v_mad_u64_u32 v[3:4], null, 0xfe5163ab, v16, 0
	v_add_nc_u32_e32 v15, 0xffffff88, v14
	v_cmp_lt_u32_e32 vcc_lo, 63, v15
	v_mad_u64_u32 v[10:11], null, 0x3c439041, v16, v[4:5]
	v_cndmask_b32_e64 v17, 0, 0xffffffc0, vcc_lo
	v_mov_b32_e32 v4, v11
	v_add_nc_u32_e32 v17, v17, v15
	v_mad_u64_u32 v[11:12], null, 0xdb629599, v16, v[4:5]
	v_cmp_lt_u32_e64 s0, 31, v17
	v_cndmask_b32_e64 v18, 0, 0xffffffe0, s0
	v_mov_b32_e32 v4, v12
	v_cndmask_b32_e32 v3, v11, v3, vcc_lo
	v_mad_u64_u32 v[12:13], null, 0xf534ddc0, v16, v[4:5]
	v_mov_b32_e32 v4, v13
	v_cndmask_b32_e32 v10, v12, v10, vcc_lo
	v_mad_u64_u32 v[13:14], null, 0xfc2757d1, v16, v[4:5]
	v_cndmask_b32_e64 v3, v10, v3, s0
	v_mov_b32_e32 v4, v14
	v_mad_u64_u32 v[14:15], null, 0x4e441529, v16, v[4:5]
	v_mov_b32_e32 v4, v15
	v_add_nc_u32_e32 v15, v18, v17
	v_cndmask_b32_e32 v17, v14, v12, vcc_lo
	v_mad_u64_u32 v[4:5], null, 0xa2f9836e, v16, v[4:5]
	v_cmp_lt_u32_e64 s1, 31, v15
	v_cndmask_b32_e64 v16, 0, 0xffffffe0, s1
	v_cndmask_b32_e32 v4, v4, v13, vcc_lo
	v_cndmask_b32_e32 v5, v5, v14, vcc_lo
	;; [unrolled: 1-line block ×3, first 2 shown]
	v_add_nc_u32_e32 v14, v16, v15
	v_cndmask_b32_e64 v12, v4, v17, s0
	v_cndmask_b32_e64 v4, v5, v4, s0
	;; [unrolled: 1-line block ×4, first 2 shown]
	v_sub_nc_u32_e32 v15, 32, v14
	v_cmp_eq_u32_e32 vcc_lo, 0, v14
	v_cndmask_b32_e64 v4, v4, v12, s1
	v_cndmask_b32_e64 v12, v12, v5, s1
	;; [unrolled: 1-line block ×4, first 2 shown]
	v_alignbit_b32 v16, v4, v12, v15
	v_alignbit_b32 v11, v12, v5, v15
	;; [unrolled: 1-line block ×3, first 2 shown]
	v_cndmask_b32_e32 v4, v16, v4, vcc_lo
	v_cndmask_b32_e32 v10, v11, v12, vcc_lo
	;; [unrolled: 1-line block ×3, first 2 shown]
	v_bfe_u32 v11, v4, 29, 1
	v_alignbit_b32 v12, v4, v10, 30
	v_alignbit_b32 v10, v10, v5, 30
	;; [unrolled: 1-line block ×3, first 2 shown]
	v_sub_nc_u32_e32 v13, 0, v11
	v_xor_b32_e32 v12, v12, v13
	v_xor_b32_e32 v5, v10, v13
	;; [unrolled: 1-line block ×3, first 2 shown]
	v_lshrrev_b32_e32 v13, 29, v4
	v_lshrrev_b32_e32 v4, 30, v4
	v_ffbh_u32_e32 v14, v12
	v_add_nc_u32_e32 v4, v11, v4
	v_min_u32_e32 v14, 32, v14
	v_sub_nc_u32_e32 v10, 31, v14
	v_lshlrev_b32_e32 v15, 23, v14
	v_alignbit_b32 v12, v12, v5, v10
	v_alignbit_b32 v3, v5, v3, v10
	v_lshlrev_b32_e32 v5, 31, v13
	v_alignbit_b32 v10, v12, v3, 9
	v_or_b32_e32 v13, 0.5, v5
	v_lshrrev_b32_e32 v12, 9, v12
	v_or_b32_e32 v5, 0x33000000, v5
	v_ffbh_u32_e32 v16, v10
	v_sub_nc_u32_e32 v13, v13, v15
	v_min_u32_e32 v15, 32, v16
	v_or_b32_e32 v12, v12, v13
	v_not_b32_e32 v13, v15
	v_mul_f32_e32 v16, 0x3fc90fda, v12
	v_add_lshl_u32 v14, v15, v14, 23
	v_alignbit_b32 v3, v10, v3, v13
	v_fma_f32 v10, 0x3fc90fda, v12, -v16
	v_sub_nc_u32_e32 v5, v5, v14
	v_lshrrev_b32_e32 v3, 9, v3
	v_fmamk_f32 v10, v12, 0x33a22168, v10
	v_or_b32_e32 v3, v5, v3
	v_fmac_f32_e32 v10, 0x3fc90fda, v3
	v_add_f32_e32 v3, v16, v10
.LBB9_15:
	s_andn2_saveexec_b32 s0, s12
; %bb.16:
	v_mul_f32_e64 v3, 0x3f22f983, |v6|
	v_rndne_f32_e32 v4, v3
	v_fma_f32 v3, 0xbfc90fda, v4, |v6|
	v_fmamk_f32 v3, v4, 0xb3a22168, v3
	v_fmamk_f32 v3, v4, 0xa7c234c4, v3
	v_cvt_i32_f32_e32 v4, v4
; %bb.17:
	s_or_b32 exec_lo, exec_lo, s0
	v_mul_f32_e32 v5, v3, v3
	s_mov_b32 s0, 0xb94c1982
	s_mov_b32 s1, 0x37d75334
	v_and_b32_e32 v12, 1, v4
	v_lshlrev_b32_e32 v4, 30, v4
	v_fmaak_f32 v10, s0, v5, 0x3c0881c4
	v_fmaak_f32 v11, s1, v5, 0xbab64f3b
	v_xor_b32_e32 v2, v2, v6
	v_cmp_eq_u32_e32 vcc_lo, 0, v12
	v_and_b32_e32 v4, 0x80000000, v4
	v_fmaak_f32 v10, v5, v10, 0xbe2aaa9d
	v_fmaak_f32 v11, v5, v11, 0x3d2aabf7
	v_mul_f32_e32 v10, v5, v10
	v_fmaak_f32 v11, v5, v11, 0xbf000004
	v_fmac_f32_e32 v3, v3, v10
	v_fma_f32 v5, v5, v11, 1.0
	v_cndmask_b32_e32 v3, v5, v3, vcc_lo
	v_cmp_class_f32_e64 vcc_lo, v6, 0x1f8
	v_xor3_b32 v2, v2, v4, v3
	v_cndmask_b32_e32 v2, 0x7fc00000, v2, vcc_lo
	v_div_scale_f32 v3, null, v6, v6, v2
	v_rcp_f32_e32 v4, v3
	v_fma_f32 v5, -v3, v4, 1.0
	v_fmac_f32_e32 v4, v5, v4
	v_div_scale_f32 v5, vcc_lo, v2, v6, v2
	v_mul_f32_e32 v10, v5, v4
	v_fma_f32 v11, -v3, v10, v5
	v_fmac_f32_e32 v10, v11, v4
	v_fma_f32 v3, -v3, v10, v5
	v_div_fmas_f32 v3, v3, v4, v10
	v_div_fixup_f32 v2, v3, v6, v2
.LBB9_18:
	s_andn2_saveexec_b32 s0, s7
	s_cbranch_execz .LBB9_20
; %bb.19:
	v_mul_f32_e32 v2, v6, v6
	s_mov_b32 s1, 0x2f309231
	v_fmaak_f32 v3, s1, v2, 0xb2d7322b
	v_fmaak_f32 v3, v2, v3, 0x3638ef1d
	;; [unrolled: 1-line block ×5, first 2 shown]
	v_fma_f32 v2, v2, v3, 1.0
.LBB9_20:
	s_or_b32 exec_lo, exec_lo, s0
.LBB9_21:
	s_or_b32 exec_lo, exec_lo, s5
	v_mov_b32_e32 v4, 0
	v_mov_b32_e32 v3, 0
	s_mov_b32 s5, exec_lo
	v_cmpx_neq_f32_e64 0x7f800000, |v7|
	s_cbranch_execz .LBB9_31
; %bb.22:
	s_mov_b32 s1, exec_lo
	v_cmpx_nlt_f32_e64 |v7|, 0.5
	s_xor_b32 s7, exec_lo, s1
	s_cbranch_execz .LBB9_28
; %bb.23:
	v_and_b32_e32 v3, 0x7fffffff, v7
                                        ; implicit-def: $vgpr6
                                        ; implicit-def: $vgpr5
	s_mov_b32 s1, exec_lo
	v_cmpx_ngt_f32_e64 0x48000000, |v7|
	s_xor_b32 s12, exec_lo, s1
	s_cbranch_execz .LBB9_25
; %bb.24:
	s_mov_b32 s0, 0x7fffff
	v_mov_b32_e32 v11, 0
	v_and_or_b32 v18, v3, s0, 0x800000
	v_mad_u64_u32 v[5:6], null, 0xfe5163ab, v18, 0
	v_mov_b32_e32 v10, v6
	v_lshrrev_b32_e32 v6, 23, v3
	v_mad_u64_u32 v[12:13], null, 0x3c439041, v18, v[10:11]
	v_add_nc_u32_e32 v6, 0xffffff88, v6
	v_cmp_lt_u32_e32 vcc_lo, 63, v6
	v_mov_b32_e32 v10, v13
	v_cndmask_b32_e64 v17, 0, 0xffffffc0, vcc_lo
	v_mad_u64_u32 v[13:14], null, 0xdb629599, v18, v[10:11]
	v_add_nc_u32_e32 v6, v17, v6
	v_mov_b32_e32 v10, v14
	v_cmp_lt_u32_e64 s0, 31, v6
	v_cndmask_b32_e32 v5, v13, v5, vcc_lo
	v_mad_u64_u32 v[14:15], null, 0xf534ddc0, v18, v[10:11]
	v_cndmask_b32_e64 v19, 0, 0xffffffe0, s0
	v_add_nc_u32_e32 v6, v19, v6
	v_mov_b32_e32 v10, v15
	v_cndmask_b32_e32 v12, v14, v12, vcc_lo
	v_cmp_lt_u32_e64 s1, 31, v6
	v_mad_u64_u32 v[15:16], null, 0xfc2757d1, v18, v[10:11]
	v_cndmask_b32_e64 v5, v12, v5, s0
	v_mov_b32_e32 v10, v16
	v_mad_u64_u32 v[16:17], null, 0x4e441529, v18, v[10:11]
	v_mov_b32_e32 v10, v17
	v_cndmask_b32_e64 v17, 0, 0xffffffe0, s1
	v_mad_u64_u32 v[10:11], null, 0xa2f9836e, v18, v[10:11]
	v_cndmask_b32_e32 v18, v16, v14, vcc_lo
	v_add_nc_u32_e32 v6, v17, v6
	v_cndmask_b32_e32 v10, v10, v15, vcc_lo
	v_cndmask_b32_e32 v11, v11, v16, vcc_lo
	;; [unrolled: 1-line block ×3, first 2 shown]
	v_sub_nc_u32_e32 v16, 32, v6
	v_cmp_eq_u32_e32 vcc_lo, 0, v6
	v_cndmask_b32_e64 v14, v10, v18, s0
	v_cndmask_b32_e64 v10, v11, v10, s0
	;; [unrolled: 1-line block ×8, first 2 shown]
	v_alignbit_b32 v17, v10, v14, v16
	v_alignbit_b32 v13, v14, v11, v16
	;; [unrolled: 1-line block ×3, first 2 shown]
	v_cndmask_b32_e32 v6, v17, v10, vcc_lo
	v_cndmask_b32_e32 v10, v13, v14, vcc_lo
	;; [unrolled: 1-line block ×3, first 2 shown]
	v_bfe_u32 v12, v6, 29, 1
	v_alignbit_b32 v13, v6, v10, 30
	v_alignbit_b32 v10, v10, v11, 30
	;; [unrolled: 1-line block ×3, first 2 shown]
	v_sub_nc_u32_e32 v14, 0, v12
	v_xor_b32_e32 v13, v13, v14
	v_xor_b32_e32 v10, v10, v14
	;; [unrolled: 1-line block ×3, first 2 shown]
	v_lshrrev_b32_e32 v14, 29, v6
	v_lshrrev_b32_e32 v6, 30, v6
	v_ffbh_u32_e32 v15, v13
	v_add_nc_u32_e32 v6, v12, v6
	v_min_u32_e32 v15, 32, v15
	v_sub_nc_u32_e32 v11, 31, v15
	v_lshlrev_b32_e32 v16, 23, v15
	v_alignbit_b32 v13, v13, v10, v11
	v_alignbit_b32 v5, v10, v5, v11
	v_lshlrev_b32_e32 v10, 31, v14
	v_alignbit_b32 v11, v13, v5, 9
	v_or_b32_e32 v14, 0.5, v10
	v_lshrrev_b32_e32 v13, 9, v13
	v_or_b32_e32 v10, 0x33000000, v10
	v_ffbh_u32_e32 v17, v11
	v_sub_nc_u32_e32 v14, v14, v16
	v_min_u32_e32 v16, 32, v17
	v_or_b32_e32 v13, v13, v14
	v_not_b32_e32 v14, v16
	v_mul_f32_e32 v17, 0x3fc90fda, v13
	v_add_lshl_u32 v15, v16, v15, 23
	v_alignbit_b32 v5, v11, v5, v14
	v_fma_f32 v11, 0x3fc90fda, v13, -v17
	v_sub_nc_u32_e32 v10, v10, v15
	v_lshrrev_b32_e32 v5, 9, v5
	v_fmamk_f32 v11, v13, 0x33a22168, v11
	v_or_b32_e32 v5, v10, v5
	v_fmac_f32_e32 v11, 0x3fc90fda, v5
	v_add_f32_e32 v5, v17, v11
.LBB9_25:
	s_andn2_saveexec_b32 s0, s12
; %bb.26:
	v_mul_f32_e64 v5, 0x3f22f983, |v7|
	v_rndne_f32_e32 v6, v5
	v_fma_f32 v5, 0xbfc90fda, v6, |v7|
	v_fmamk_f32 v5, v6, 0xb3a22168, v5
	v_fmamk_f32 v5, v6, 0xa7c234c4, v5
	v_cvt_i32_f32_e32 v6, v6
; %bb.27:
	s_or_b32 exec_lo, exec_lo, s0
	v_mul_f32_e32 v10, v5, v5
	s_mov_b32 s0, 0xb94c1982
	s_mov_b32 s1, 0x37d75334
	v_and_b32_e32 v13, 1, v6
	v_lshlrev_b32_e32 v6, 30, v6
	v_fmaak_f32 v11, s0, v10, 0x3c0881c4
	v_fmaak_f32 v12, s1, v10, 0xbab64f3b
	v_xor_b32_e32 v3, v3, v7
	v_cmp_eq_u32_e32 vcc_lo, 0, v13
	v_and_b32_e32 v6, 0x80000000, v6
	v_fmaak_f32 v11, v10, v11, 0xbe2aaa9d
	v_fmaak_f32 v12, v10, v12, 0x3d2aabf7
	v_mul_f32_e32 v11, v10, v11
	v_fmaak_f32 v12, v10, v12, 0xbf000004
	v_fmac_f32_e32 v5, v5, v11
	v_fma_f32 v10, v10, v12, 1.0
	v_cndmask_b32_e32 v5, v10, v5, vcc_lo
	v_cmp_class_f32_e64 vcc_lo, v7, 0x1f8
	v_xor3_b32 v3, v3, v6, v5
	v_cndmask_b32_e32 v3, 0x7fc00000, v3, vcc_lo
	v_div_scale_f32 v5, null, v7, v7, v3
	v_rcp_f32_e32 v6, v5
	v_fma_f32 v10, -v5, v6, 1.0
	v_fmac_f32_e32 v6, v10, v6
	v_div_scale_f32 v10, vcc_lo, v3, v7, v3
	v_mul_f32_e32 v11, v10, v6
	v_fma_f32 v12, -v5, v11, v10
	v_fmac_f32_e32 v11, v12, v6
	v_fma_f32 v5, -v5, v11, v10
	v_div_fmas_f32 v5, v5, v6, v11
	v_div_fixup_f32 v3, v5, v7, v3
.LBB9_28:
	s_andn2_saveexec_b32 s0, s7
	s_cbranch_execz .LBB9_30
; %bb.29:
	v_mul_f32_e32 v3, v7, v7
	s_mov_b32 s1, 0x2f309231
	v_fmaak_f32 v5, s1, v3, 0xb2d7322b
	v_fmaak_f32 v5, v3, v5, 0x3638ef1d
	;; [unrolled: 1-line block ×5, first 2 shown]
	v_fma_f32 v3, v3, v5, 1.0
.LBB9_30:
	s_or_b32 exec_lo, exec_lo, s0
.LBB9_31:
	s_or_b32 exec_lo, exec_lo, s5
	s_mov_b32 s5, exec_lo
	v_cmpx_neq_f32_e64 0x7f800000, |v8|
	s_cbranch_execz .LBB9_41
; %bb.32:
	s_mov_b32 s1, exec_lo
	v_cmpx_nlt_f32_e64 |v8|, 0.5
	s_xor_b32 s7, exec_lo, s1
	s_cbranch_execz .LBB9_38
; %bb.33:
	v_and_b32_e32 v4, 0x7fffffff, v8
                                        ; implicit-def: $vgpr6
                                        ; implicit-def: $vgpr5
	s_mov_b32 s1, exec_lo
	v_cmpx_ngt_f32_e64 0x48000000, |v8|
	s_xor_b32 s12, exec_lo, s1
	s_cbranch_execz .LBB9_35
; %bb.34:
	s_mov_b32 s0, 0x7fffff
	v_mov_b32_e32 v7, 0
	v_and_or_b32 v16, v4, s0, 0x800000
	v_lshrrev_b32_e32 v14, 23, v4
	v_mad_u64_u32 v[5:6], null, 0xfe5163ab, v16, 0
	v_add_nc_u32_e32 v15, 0xffffff88, v14
	v_cmp_lt_u32_e32 vcc_lo, 63, v15
	v_mad_u64_u32 v[10:11], null, 0x3c439041, v16, v[6:7]
	v_cndmask_b32_e64 v17, 0, 0xffffffc0, vcc_lo
	v_mov_b32_e32 v6, v11
	v_add_nc_u32_e32 v17, v17, v15
	v_mad_u64_u32 v[11:12], null, 0xdb629599, v16, v[6:7]
	v_cmp_lt_u32_e64 s0, 31, v17
	v_cndmask_b32_e64 v18, 0, 0xffffffe0, s0
	v_mov_b32_e32 v6, v12
	v_cndmask_b32_e32 v5, v11, v5, vcc_lo
	v_mad_u64_u32 v[12:13], null, 0xf534ddc0, v16, v[6:7]
	v_mov_b32_e32 v6, v13
	v_cndmask_b32_e32 v10, v12, v10, vcc_lo
	v_mad_u64_u32 v[13:14], null, 0xfc2757d1, v16, v[6:7]
	v_cndmask_b32_e64 v5, v10, v5, s0
	v_mov_b32_e32 v6, v14
	v_mad_u64_u32 v[14:15], null, 0x4e441529, v16, v[6:7]
	v_mov_b32_e32 v6, v15
	v_add_nc_u32_e32 v15, v18, v17
	v_cndmask_b32_e32 v17, v14, v12, vcc_lo
	v_mad_u64_u32 v[6:7], null, 0xa2f9836e, v16, v[6:7]
	v_cmp_lt_u32_e64 s1, 31, v15
	v_cndmask_b32_e64 v16, 0, 0xffffffe0, s1
	v_cndmask_b32_e32 v6, v6, v13, vcc_lo
	v_cndmask_b32_e32 v7, v7, v14, vcc_lo
	;; [unrolled: 1-line block ×3, first 2 shown]
	v_add_nc_u32_e32 v14, v16, v15
	v_cndmask_b32_e64 v12, v6, v17, s0
	v_cndmask_b32_e64 v6, v7, v6, s0
	;; [unrolled: 1-line block ×4, first 2 shown]
	v_sub_nc_u32_e32 v15, 32, v14
	v_cmp_eq_u32_e32 vcc_lo, 0, v14
	v_cndmask_b32_e64 v6, v6, v12, s1
	v_cndmask_b32_e64 v12, v12, v7, s1
	;; [unrolled: 1-line block ×4, first 2 shown]
	v_alignbit_b32 v16, v6, v12, v15
	v_alignbit_b32 v11, v12, v7, v15
	;; [unrolled: 1-line block ×3, first 2 shown]
	v_cndmask_b32_e32 v6, v16, v6, vcc_lo
	v_cndmask_b32_e32 v10, v11, v12, vcc_lo
	;; [unrolled: 1-line block ×3, first 2 shown]
	v_bfe_u32 v11, v6, 29, 1
	v_alignbit_b32 v12, v6, v10, 30
	v_alignbit_b32 v10, v10, v7, 30
	;; [unrolled: 1-line block ×3, first 2 shown]
	v_sub_nc_u32_e32 v13, 0, v11
	v_xor_b32_e32 v12, v12, v13
	v_xor_b32_e32 v7, v10, v13
	;; [unrolled: 1-line block ×3, first 2 shown]
	v_lshrrev_b32_e32 v13, 29, v6
	v_lshrrev_b32_e32 v6, 30, v6
	v_ffbh_u32_e32 v14, v12
	v_add_nc_u32_e32 v6, v11, v6
	v_min_u32_e32 v14, 32, v14
	v_sub_nc_u32_e32 v10, 31, v14
	v_lshlrev_b32_e32 v15, 23, v14
	v_alignbit_b32 v12, v12, v7, v10
	v_alignbit_b32 v5, v7, v5, v10
	v_lshlrev_b32_e32 v7, 31, v13
	v_alignbit_b32 v10, v12, v5, 9
	v_or_b32_e32 v13, 0.5, v7
	v_lshrrev_b32_e32 v12, 9, v12
	v_or_b32_e32 v7, 0x33000000, v7
	v_ffbh_u32_e32 v16, v10
	v_sub_nc_u32_e32 v13, v13, v15
	v_min_u32_e32 v15, 32, v16
	v_or_b32_e32 v12, v12, v13
	v_not_b32_e32 v13, v15
	v_mul_f32_e32 v16, 0x3fc90fda, v12
	v_add_lshl_u32 v14, v15, v14, 23
	v_alignbit_b32 v5, v10, v5, v13
	v_fma_f32 v10, 0x3fc90fda, v12, -v16
	v_sub_nc_u32_e32 v7, v7, v14
	v_lshrrev_b32_e32 v5, 9, v5
	v_fmamk_f32 v10, v12, 0x33a22168, v10
	v_or_b32_e32 v5, v7, v5
	v_fmac_f32_e32 v10, 0x3fc90fda, v5
	v_add_f32_e32 v5, v16, v10
.LBB9_35:
	s_andn2_saveexec_b32 s0, s12
; %bb.36:
	v_mul_f32_e64 v5, 0x3f22f983, |v8|
	v_rndne_f32_e32 v6, v5
	v_fma_f32 v5, 0xbfc90fda, v6, |v8|
	v_fmamk_f32 v5, v6, 0xb3a22168, v5
	v_fmamk_f32 v5, v6, 0xa7c234c4, v5
	v_cvt_i32_f32_e32 v6, v6
; %bb.37:
	s_or_b32 exec_lo, exec_lo, s0
	v_mul_f32_e32 v7, v5, v5
	s_mov_b32 s0, 0xb94c1982
	s_mov_b32 s1, 0x37d75334
	v_and_b32_e32 v12, 1, v6
	v_lshlrev_b32_e32 v6, 30, v6
	v_fmaak_f32 v10, s0, v7, 0x3c0881c4
	v_fmaak_f32 v11, s1, v7, 0xbab64f3b
	v_xor_b32_e32 v4, v4, v8
	v_cmp_eq_u32_e32 vcc_lo, 0, v12
	v_and_b32_e32 v6, 0x80000000, v6
	v_fmaak_f32 v10, v7, v10, 0xbe2aaa9d
	v_fmaak_f32 v11, v7, v11, 0x3d2aabf7
	v_mul_f32_e32 v10, v7, v10
	v_fmaak_f32 v11, v7, v11, 0xbf000004
	v_fmac_f32_e32 v5, v5, v10
	v_fma_f32 v7, v7, v11, 1.0
	v_cndmask_b32_e32 v5, v7, v5, vcc_lo
	v_cmp_class_f32_e64 vcc_lo, v8, 0x1f8
	v_xor3_b32 v4, v4, v6, v5
	v_cndmask_b32_e32 v4, 0x7fc00000, v4, vcc_lo
	v_div_scale_f32 v5, null, v8, v8, v4
	v_rcp_f32_e32 v6, v5
	v_fma_f32 v7, -v5, v6, 1.0
	v_fmac_f32_e32 v6, v7, v6
	v_div_scale_f32 v7, vcc_lo, v4, v8, v4
	v_mul_f32_e32 v10, v7, v6
	v_fma_f32 v11, -v5, v10, v7
	v_fmac_f32_e32 v10, v11, v6
	v_fma_f32 v5, -v5, v10, v7
	v_div_fmas_f32 v5, v5, v6, v10
	v_div_fixup_f32 v4, v5, v8, v4
                                        ; implicit-def: $vgpr5_vgpr6_vgpr7_vgpr8
.LBB9_38:
	s_andn2_saveexec_b32 s0, s7
	s_cbranch_execz .LBB9_40
; %bb.39:
	v_mul_f32_e32 v4, v8, v8
	s_mov_b32 s1, 0x2f309231
	v_fmaak_f32 v5, s1, v4, 0xb2d7322b
	v_fmaak_f32 v5, v4, v5, 0x3638ef1d
	;; [unrolled: 1-line block ×5, first 2 shown]
	v_fma_f32 v4, v4, v5, 1.0
.LBB9_40:
	s_or_b32 exec_lo, exec_lo, s0
.LBB9_41:
	s_or_b32 exec_lo, exec_lo, s5
	s_add_u32 s2, s8, s2
	s_addc_u32 s3, s9, s3
	s_mov_b32 s0, 0
	global_store_dwordx4 v9, v[1:4], s[2:3]
.LBB9_42:
	s_and_b32 vcc_lo, exec_lo, s0
	s_cbranch_vccz .LBB9_93
; %bb.43:
	v_cmp_gt_i32_e64 s0, s6, v0
	v_mov_b32_e32 v10, 0
	v_or_b32_e32 v6, s4, v0
	v_or_b32_e32 v8, 0x100, v0
	v_mov_b32_e32 v5, 0
	v_mov_b32_e32 v1, v0
	s_and_saveexec_b32 s1, s0
	s_cbranch_execz .LBB9_45
; %bb.44:
	v_mov_b32_e32 v7, 0
	v_lshlrev_b64 v[1:2], 2, v[6:7]
	v_add_co_u32 v1, vcc_lo, s10, v1
	v_add_co_ci_u32_e64 v2, null, s11, v2, vcc_lo
	global_load_dword v5, v[1:2], off
	v_or_b32_e32 v1, 0x100, v0
.LBB9_45:
	s_or_b32 exec_lo, exec_lo, s1
	s_mov_b32 s1, exec_lo
	v_cmpx_gt_i32_e64 s6, v1
	s_cbranch_execz .LBB9_47
; %bb.46:
	v_add_nc_u32_e32 v2, s4, v1
	v_mov_b32_e32 v3, 0
	v_add_nc_u32_e32 v1, 0x100, v1
	v_lshlrev_b64 v[2:3], 2, v[2:3]
	v_add_co_u32 v2, vcc_lo, s10, v2
	v_add_co_ci_u32_e64 v3, null, s11, v3, vcc_lo
	global_load_dword v10, v[2:3], off
.LBB9_47:
	s_or_b32 exec_lo, exec_lo, s1
	v_mov_b32_e32 v7, 0
	v_mov_b32_e32 v9, 0
	s_mov_b32 s1, exec_lo
	v_cmpx_gt_i32_e64 s6, v1
	s_cbranch_execz .LBB9_49
; %bb.48:
	v_add_nc_u32_e32 v2, s4, v1
	v_mov_b32_e32 v3, 0
	v_add_nc_u32_e32 v1, 0x100, v1
	v_lshlrev_b64 v[2:3], 2, v[2:3]
	v_add_co_u32 v2, vcc_lo, s10, v2
	v_add_co_ci_u32_e64 v3, null, s11, v3, vcc_lo
	global_load_dword v9, v[2:3], off
.LBB9_49:
	s_or_b32 exec_lo, exec_lo, s1
	s_mov_b32 s1, exec_lo
	v_cmpx_gt_i32_e64 s6, v1
	s_cbranch_execz .LBB9_51
; %bb.50:
	v_add_nc_u32_e32 v1, s4, v1
	v_mov_b32_e32 v2, 0
	v_lshlrev_b64 v[1:2], 2, v[1:2]
	v_add_co_u32 v1, vcc_lo, s10, v1
	v_add_co_ci_u32_e64 v2, null, s11, v2, vcc_lo
	global_load_dword v7, v[1:2], off
.LBB9_51:
	s_or_b32 exec_lo, exec_lo, s1
	v_mov_b32_e32 v1, 0
	v_mov_b32_e32 v2, v1
	v_mov_b32_e32 v3, v1
	v_mov_b32_e32 v4, v1
	s_and_saveexec_b32 s3, s0
	s_cbranch_execz .LBB9_63
; %bb.52:
	v_mov_b32_e32 v2, 0
	s_mov_b32 s5, exec_lo
	s_waitcnt vmcnt(0)
	v_cmpx_neq_f32_e64 0x7f800000, |v5|
	s_cbranch_execz .LBB9_62
; %bb.53:
                                        ; implicit-def: $vgpr2
	s_mov_b32 s2, exec_lo
	v_cmpx_nlt_f32_e64 |v5|, 0.5
	s_xor_b32 s7, exec_lo, s2
	s_cbranch_execz .LBB9_59
; %bb.54:
	v_and_b32_e32 v2, 0x7fffffff, v5
                                        ; implicit-def: $vgpr4
                                        ; implicit-def: $vgpr3
	s_mov_b32 s2, exec_lo
	v_cmpx_ngt_f32_e64 0x48000000, |v5|
	s_xor_b32 s10, exec_lo, s2
	s_cbranch_execz .LBB9_56
; %bb.55:
	s_mov_b32 s1, 0x7fffff
	v_mov_b32_e32 v12, 0
	v_and_or_b32 v19, v2, s1, 0x800000
	v_mad_u64_u32 v[3:4], null, 0xfe5163ab, v19, 0
	v_mov_b32_e32 v11, v4
	v_lshrrev_b32_e32 v4, 23, v2
	v_mad_u64_u32 v[13:14], null, 0x3c439041, v19, v[11:12]
	v_add_nc_u32_e32 v4, 0xffffff88, v4
	v_cmp_lt_u32_e32 vcc_lo, 63, v4
	v_mov_b32_e32 v11, v14
	v_cndmask_b32_e64 v18, 0, 0xffffffc0, vcc_lo
	v_mad_u64_u32 v[14:15], null, 0xdb629599, v19, v[11:12]
	v_add_nc_u32_e32 v4, v18, v4
	v_mov_b32_e32 v11, v15
	v_cmp_lt_u32_e64 s1, 31, v4
	v_cndmask_b32_e32 v3, v14, v3, vcc_lo
	v_mad_u64_u32 v[15:16], null, 0xf534ddc0, v19, v[11:12]
	v_cndmask_b32_e64 v20, 0, 0xffffffe0, s1
	v_add_nc_u32_e32 v4, v20, v4
	v_mov_b32_e32 v11, v16
	v_cndmask_b32_e32 v13, v15, v13, vcc_lo
	v_cmp_lt_u32_e64 s2, 31, v4
	v_mad_u64_u32 v[16:17], null, 0xfc2757d1, v19, v[11:12]
	v_cndmask_b32_e64 v3, v13, v3, s1
	v_mov_b32_e32 v11, v17
	v_mad_u64_u32 v[17:18], null, 0x4e441529, v19, v[11:12]
	v_mov_b32_e32 v11, v18
	v_cndmask_b32_e64 v18, 0, 0xffffffe0, s2
	v_mad_u64_u32 v[11:12], null, 0xa2f9836e, v19, v[11:12]
	v_cndmask_b32_e32 v19, v17, v15, vcc_lo
	v_add_nc_u32_e32 v4, v18, v4
	v_cndmask_b32_e32 v11, v11, v16, vcc_lo
	v_cndmask_b32_e32 v12, v12, v17, vcc_lo
	;; [unrolled: 1-line block ×3, first 2 shown]
	v_sub_nc_u32_e32 v17, 32, v4
	v_cmp_eq_u32_e32 vcc_lo, 0, v4
	v_cndmask_b32_e64 v15, v11, v19, s1
	v_cndmask_b32_e64 v11, v12, v11, s1
	;; [unrolled: 1-line block ×8, first 2 shown]
	v_alignbit_b32 v18, v11, v15, v17
	v_alignbit_b32 v14, v15, v12, v17
	;; [unrolled: 1-line block ×3, first 2 shown]
	v_cndmask_b32_e32 v4, v18, v11, vcc_lo
	v_cndmask_b32_e32 v11, v14, v15, vcc_lo
	;; [unrolled: 1-line block ×3, first 2 shown]
	v_bfe_u32 v13, v4, 29, 1
	v_alignbit_b32 v14, v4, v11, 30
	v_alignbit_b32 v11, v11, v12, 30
	;; [unrolled: 1-line block ×3, first 2 shown]
	v_sub_nc_u32_e32 v15, 0, v13
	v_xor_b32_e32 v14, v14, v15
	v_xor_b32_e32 v11, v11, v15
	;; [unrolled: 1-line block ×3, first 2 shown]
	v_lshrrev_b32_e32 v15, 29, v4
	v_lshrrev_b32_e32 v4, 30, v4
	v_ffbh_u32_e32 v16, v14
	v_add_nc_u32_e32 v4, v13, v4
	v_min_u32_e32 v16, 32, v16
	v_sub_nc_u32_e32 v12, 31, v16
	v_lshlrev_b32_e32 v17, 23, v16
	v_alignbit_b32 v14, v14, v11, v12
	v_alignbit_b32 v3, v11, v3, v12
	v_lshlrev_b32_e32 v11, 31, v15
	v_alignbit_b32 v12, v14, v3, 9
	v_or_b32_e32 v15, 0.5, v11
	v_lshrrev_b32_e32 v14, 9, v14
	v_or_b32_e32 v11, 0x33000000, v11
	v_ffbh_u32_e32 v18, v12
	v_sub_nc_u32_e32 v15, v15, v17
	v_min_u32_e32 v17, 32, v18
	v_or_b32_e32 v14, v14, v15
	v_not_b32_e32 v15, v17
	v_mul_f32_e32 v18, 0x3fc90fda, v14
	v_add_lshl_u32 v16, v17, v16, 23
	v_alignbit_b32 v3, v12, v3, v15
	v_fma_f32 v12, 0x3fc90fda, v14, -v18
	v_sub_nc_u32_e32 v11, v11, v16
	v_lshrrev_b32_e32 v3, 9, v3
	v_fmamk_f32 v12, v14, 0x33a22168, v12
	v_or_b32_e32 v3, v11, v3
	v_fmac_f32_e32 v12, 0x3fc90fda, v3
	v_add_f32_e32 v3, v18, v12
.LBB9_56:
	s_andn2_saveexec_b32 s1, s10
; %bb.57:
	v_mul_f32_e64 v3, 0x3f22f983, |v5|
	v_rndne_f32_e32 v4, v3
	v_fma_f32 v3, 0xbfc90fda, v4, |v5|
	v_fmamk_f32 v3, v4, 0xb3a22168, v3
	v_fmamk_f32 v3, v4, 0xa7c234c4, v3
	v_cvt_i32_f32_e32 v4, v4
; %bb.58:
	s_or_b32 exec_lo, exec_lo, s1
	v_mul_f32_e32 v11, v3, v3
	s_mov_b32 s1, 0xb94c1982
	s_mov_b32 s2, 0x37d75334
	v_and_b32_e32 v14, 1, v4
	v_lshlrev_b32_e32 v4, 30, v4
	v_fmaak_f32 v12, s1, v11, 0x3c0881c4
	v_fmaak_f32 v13, s2, v11, 0xbab64f3b
	v_xor_b32_e32 v2, v2, v5
	v_cmp_eq_u32_e32 vcc_lo, 0, v14
	v_and_b32_e32 v4, 0x80000000, v4
	v_fmaak_f32 v12, v11, v12, 0xbe2aaa9d
	v_fmaak_f32 v13, v11, v13, 0x3d2aabf7
	v_mul_f32_e32 v12, v11, v12
	v_fmaak_f32 v13, v11, v13, 0xbf000004
	v_fmac_f32_e32 v3, v3, v12
	v_fma_f32 v11, v11, v13, 1.0
	v_cndmask_b32_e32 v3, v11, v3, vcc_lo
	v_cmp_class_f32_e64 vcc_lo, v5, 0x1f8
	v_xor3_b32 v2, v2, v4, v3
	v_cndmask_b32_e32 v2, 0x7fc00000, v2, vcc_lo
	v_div_scale_f32 v3, null, v5, v5, v2
	v_rcp_f32_e32 v4, v3
	v_fma_f32 v11, -v3, v4, 1.0
	v_fmac_f32_e32 v4, v11, v4
	v_div_scale_f32 v11, vcc_lo, v2, v5, v2
	v_mul_f32_e32 v12, v11, v4
	v_fma_f32 v13, -v3, v12, v11
	v_fmac_f32_e32 v12, v13, v4
	v_fma_f32 v3, -v3, v12, v11
	v_div_fmas_f32 v3, v3, v4, v12
	v_div_fixup_f32 v2, v3, v5, v2
                                        ; implicit-def: $vgpr5
.LBB9_59:
	s_andn2_saveexec_b32 s1, s7
	s_cbranch_execz .LBB9_61
; %bb.60:
	v_mul_f32_e32 v2, v5, v5
	s_mov_b32 s2, 0x2f309231
	v_fmaak_f32 v3, s2, v2, 0xb2d7322b
	v_fmaak_f32 v3, v2, v3, 0x3638ef1d
	;; [unrolled: 1-line block ×5, first 2 shown]
	v_fma_f32 v2, v2, v3, 1.0
.LBB9_61:
	s_or_b32 exec_lo, exec_lo, s1
.LBB9_62:
	s_or_b32 exec_lo, exec_lo, s5
	v_mov_b32_e32 v5, v1
	v_mov_b32_e32 v3, v1
	;; [unrolled: 1-line block ×7, first 2 shown]
.LBB9_63:
	s_or_b32 exec_lo, exec_lo, s3
	s_mov_b32 s3, exec_lo
	v_cmpx_gt_i32_e64 s6, v8
	s_cbranch_execz .LBB9_75
; %bb.64:
	v_mov_b32_e32 v2, 0
	s_mov_b32 s5, exec_lo
	s_waitcnt vmcnt(0)
	v_cmpx_neq_f32_e64 0x7f800000, |v10|
	s_cbranch_execz .LBB9_74
; %bb.65:
	s_mov_b32 s2, exec_lo
	v_cmpx_nlt_f32_e64 |v10|, 0.5
	s_xor_b32 s7, exec_lo, s2
	s_cbranch_execz .LBB9_71
; %bb.66:
	v_and_b32_e32 v2, 0x7fffffff, v10
                                        ; implicit-def: $vgpr11
                                        ; implicit-def: $vgpr5
	s_mov_b32 s2, exec_lo
	v_cmpx_ngt_f32_e64 0x48000000, |v10|
	s_xor_b32 s10, exec_lo, s2
	s_cbranch_execz .LBB9_68
; %bb.67:
	s_mov_b32 s1, 0x7fffff
	v_mov_b32_e32 v13, 0
	v_and_or_b32 v5, v2, s1, 0x800000
	v_lshrrev_b32_e32 v18, 23, v2
	v_mad_u64_u32 v[11:12], null, 0xfe5163ab, v5, 0
	v_add_nc_u32_e32 v19, 0xffffff88, v18
	v_cmp_lt_u32_e32 vcc_lo, 63, v19
	v_mad_u64_u32 v[14:15], null, 0x3c439041, v5, v[12:13]
	v_cndmask_b32_e64 v20, 0, 0xffffffc0, vcc_lo
	v_mov_b32_e32 v12, v15
	v_add_nc_u32_e32 v20, v20, v19
	v_mad_u64_u32 v[15:16], null, 0xdb629599, v5, v[12:13]
	v_cmp_lt_u32_e64 s1, 31, v20
	v_cndmask_b32_e64 v21, 0, 0xffffffe0, s1
	v_mov_b32_e32 v12, v16
	v_cndmask_b32_e32 v11, v15, v11, vcc_lo
	v_mad_u64_u32 v[16:17], null, 0xf534ddc0, v5, v[12:13]
	v_mov_b32_e32 v12, v17
	v_cndmask_b32_e32 v14, v16, v14, vcc_lo
	v_mad_u64_u32 v[17:18], null, 0xfc2757d1, v5, v[12:13]
	v_cndmask_b32_e64 v11, v14, v11, s1
	v_mov_b32_e32 v12, v18
	v_mad_u64_u32 v[18:19], null, 0x4e441529, v5, v[12:13]
	v_mov_b32_e32 v12, v19
	v_add_nc_u32_e32 v19, v21, v20
	v_cndmask_b32_e32 v20, v18, v16, vcc_lo
	v_mad_u64_u32 v[12:13], null, 0xa2f9836e, v5, v[12:13]
	v_cmp_lt_u32_e64 s2, 31, v19
	v_cndmask_b32_e64 v5, 0, 0xffffffe0, s2
	v_cndmask_b32_e32 v12, v12, v17, vcc_lo
	v_cndmask_b32_e32 v13, v13, v18, vcc_lo
	;; [unrolled: 1-line block ×3, first 2 shown]
	v_add_nc_u32_e32 v5, v5, v19
	v_cndmask_b32_e64 v16, v12, v20, s1
	v_cndmask_b32_e64 v12, v13, v12, s1
	v_cndmask_b32_e64 v13, v20, v17, s1
	v_cndmask_b32_e64 v17, v17, v14, s1
	v_sub_nc_u32_e32 v18, 32, v5
	v_cmp_eq_u32_e32 vcc_lo, 0, v5
	v_cndmask_b32_e64 v12, v12, v16, s2
	v_cndmask_b32_e64 v16, v16, v13, s2
	;; [unrolled: 1-line block ×4, first 2 shown]
	v_alignbit_b32 v19, v12, v16, v18
	v_alignbit_b32 v15, v16, v13, v18
	;; [unrolled: 1-line block ×3, first 2 shown]
	v_cndmask_b32_e32 v5, v19, v12, vcc_lo
	v_cndmask_b32_e32 v12, v15, v16, vcc_lo
	;; [unrolled: 1-line block ×3, first 2 shown]
	v_bfe_u32 v14, v5, 29, 1
	v_alignbit_b32 v15, v5, v12, 30
	v_alignbit_b32 v12, v12, v13, 30
	;; [unrolled: 1-line block ×3, first 2 shown]
	v_sub_nc_u32_e32 v16, 0, v14
	v_xor_b32_e32 v15, v15, v16
	v_xor_b32_e32 v12, v12, v16
	;; [unrolled: 1-line block ×3, first 2 shown]
	v_lshrrev_b32_e32 v16, 29, v5
	v_ffbh_u32_e32 v17, v15
	v_min_u32_e32 v17, 32, v17
	v_sub_nc_u32_e32 v13, 31, v17
	v_lshlrev_b32_e32 v18, 23, v17
	v_alignbit_b32 v15, v15, v12, v13
	v_alignbit_b32 v11, v12, v11, v13
	v_lshlrev_b32_e32 v12, 31, v16
	v_alignbit_b32 v13, v15, v11, 9
	v_or_b32_e32 v16, 0.5, v12
	v_lshrrev_b32_e32 v15, 9, v15
	v_or_b32_e32 v12, 0x33000000, v12
	v_ffbh_u32_e32 v19, v13
	v_sub_nc_u32_e32 v16, v16, v18
	v_min_u32_e32 v18, 32, v19
	v_or_b32_e32 v15, v15, v16
	v_not_b32_e32 v16, v18
	v_mul_f32_e32 v19, 0x3fc90fda, v15
	v_add_lshl_u32 v17, v18, v17, 23
	v_alignbit_b32 v11, v13, v11, v16
	v_fma_f32 v13, 0x3fc90fda, v15, -v19
	v_sub_nc_u32_e32 v12, v12, v17
	v_lshrrev_b32_e32 v11, 9, v11
	v_fmamk_f32 v13, v15, 0x33a22168, v13
	v_or_b32_e32 v11, v12, v11
	v_fmac_f32_e32 v13, 0x3fc90fda, v11
	v_lshrrev_b32_e32 v11, 30, v5
	v_add_f32_e32 v5, v19, v13
	v_add_nc_u32_e32 v11, v14, v11
.LBB9_68:
	s_andn2_saveexec_b32 s1, s10
; %bb.69:
	v_mul_f32_e64 v5, 0x3f22f983, |v10|
	v_rndne_f32_e32 v11, v5
	v_fma_f32 v5, 0xbfc90fda, v11, |v10|
	v_fmamk_f32 v5, v11, 0xb3a22168, v5
	v_fmamk_f32 v5, v11, 0xa7c234c4, v5
	v_cvt_i32_f32_e32 v11, v11
; %bb.70:
	s_or_b32 exec_lo, exec_lo, s1
	v_mul_f32_e32 v12, v5, v5
	s_mov_b32 s1, 0xb94c1982
	s_mov_b32 s2, 0x37d75334
	v_and_b32_e32 v15, 1, v11
	v_lshlrev_b32_e32 v11, 30, v11
	v_fmaak_f32 v13, s1, v12, 0x3c0881c4
	v_fmaak_f32 v14, s2, v12, 0xbab64f3b
	v_xor_b32_e32 v2, v2, v10
	v_cmp_eq_u32_e32 vcc_lo, 0, v15
	v_and_b32_e32 v11, 0x80000000, v11
	v_fmaak_f32 v13, v12, v13, 0xbe2aaa9d
	v_fmaak_f32 v14, v12, v14, 0x3d2aabf7
	v_mul_f32_e32 v13, v12, v13
	v_fmaak_f32 v14, v12, v14, 0xbf000004
	v_fmac_f32_e32 v5, v5, v13
	v_fma_f32 v12, v12, v14, 1.0
	v_cndmask_b32_e32 v5, v12, v5, vcc_lo
	v_cmp_class_f32_e64 vcc_lo, v10, 0x1f8
	v_xor3_b32 v2, v2, v11, v5
	v_cndmask_b32_e32 v2, 0x7fc00000, v2, vcc_lo
	v_div_scale_f32 v5, null, v10, v10, v2
	v_rcp_f32_e32 v11, v5
	v_fma_f32 v12, -v5, v11, 1.0
	v_fmac_f32_e32 v11, v12, v11
	v_div_scale_f32 v12, vcc_lo, v2, v10, v2
	v_mul_f32_e32 v13, v12, v11
	v_fma_f32 v14, -v5, v13, v12
	v_fmac_f32_e32 v13, v14, v11
	v_fma_f32 v5, -v5, v13, v12
	v_div_fmas_f32 v5, v5, v11, v13
	v_div_fixup_f32 v2, v5, v10, v2
                                        ; implicit-def: $vgpr10
.LBB9_71:
	s_andn2_saveexec_b32 s1, s7
	s_cbranch_execz .LBB9_73
; %bb.72:
	v_mul_f32_e32 v2, v10, v10
	s_mov_b32 s2, 0x2f309231
	v_fmaak_f32 v5, s2, v2, 0xb2d7322b
	v_fmaak_f32 v5, v2, v5, 0x3638ef1d
	;; [unrolled: 1-line block ×5, first 2 shown]
	v_fma_f32 v2, v2, v5, 1.0
.LBB9_73:
	s_or_b32 exec_lo, exec_lo, s1
.LBB9_74:
	s_or_b32 exec_lo, exec_lo, s5
.LBB9_75:
	s_or_b32 exec_lo, exec_lo, s3
	s_waitcnt vmcnt(0)
	v_or_b32_e32 v5, 0x200, v0
	s_mov_b32 s3, exec_lo
	v_cmpx_gt_i32_e64 s6, v5
	s_cbranch_execz .LBB9_87
; %bb.76:
	v_mov_b32_e32 v3, 0
	s_mov_b32 s5, exec_lo
	v_cmpx_neq_f32_e64 0x7f800000, |v9|
	s_cbranch_execz .LBB9_86
; %bb.77:
	s_mov_b32 s2, exec_lo
	v_cmpx_nlt_f32_e64 |v9|, 0.5
	s_xor_b32 s7, exec_lo, s2
	s_cbranch_execz .LBB9_83
; %bb.78:
	v_and_b32_e32 v3, 0x7fffffff, v9
                                        ; implicit-def: $vgpr10
                                        ; implicit-def: $vgpr5
	s_mov_b32 s2, exec_lo
	v_cmpx_ngt_f32_e64 0x48000000, |v9|
	s_xor_b32 s10, exec_lo, s2
	s_cbranch_execz .LBB9_80
; %bb.79:
	s_mov_b32 s1, 0x7fffff
	v_mov_b32_e32 v12, 0
	v_and_or_b32 v5, v3, s1, 0x800000
	v_lshrrev_b32_e32 v17, 23, v3
	v_mad_u64_u32 v[10:11], null, 0xfe5163ab, v5, 0
	v_add_nc_u32_e32 v18, 0xffffff88, v17
	v_cmp_lt_u32_e32 vcc_lo, 63, v18
	v_mad_u64_u32 v[13:14], null, 0x3c439041, v5, v[11:12]
	v_cndmask_b32_e64 v19, 0, 0xffffffc0, vcc_lo
	v_mov_b32_e32 v11, v14
	v_add_nc_u32_e32 v19, v19, v18
	v_mad_u64_u32 v[14:15], null, 0xdb629599, v5, v[11:12]
	v_cmp_lt_u32_e64 s1, 31, v19
	v_cndmask_b32_e64 v20, 0, 0xffffffe0, s1
	v_mov_b32_e32 v11, v15
	v_cndmask_b32_e32 v10, v14, v10, vcc_lo
	v_mad_u64_u32 v[15:16], null, 0xf534ddc0, v5, v[11:12]
	v_mov_b32_e32 v11, v16
	v_cndmask_b32_e32 v13, v15, v13, vcc_lo
	v_mad_u64_u32 v[16:17], null, 0xfc2757d1, v5, v[11:12]
	v_cndmask_b32_e64 v10, v13, v10, s1
	v_mov_b32_e32 v11, v17
	v_mad_u64_u32 v[17:18], null, 0x4e441529, v5, v[11:12]
	v_mov_b32_e32 v11, v18
	v_add_nc_u32_e32 v18, v20, v19
	v_cndmask_b32_e32 v19, v17, v15, vcc_lo
	v_mad_u64_u32 v[11:12], null, 0xa2f9836e, v5, v[11:12]
	v_cmp_lt_u32_e64 s2, 31, v18
	v_cndmask_b32_e64 v5, 0, 0xffffffe0, s2
	v_cndmask_b32_e32 v11, v11, v16, vcc_lo
	v_cndmask_b32_e32 v12, v12, v17, vcc_lo
	;; [unrolled: 1-line block ×3, first 2 shown]
	v_add_nc_u32_e32 v5, v5, v18
	v_cndmask_b32_e64 v15, v11, v19, s1
	v_cndmask_b32_e64 v11, v12, v11, s1
	;; [unrolled: 1-line block ×4, first 2 shown]
	v_sub_nc_u32_e32 v17, 32, v5
	v_cmp_eq_u32_e32 vcc_lo, 0, v5
	v_cndmask_b32_e64 v11, v11, v15, s2
	v_cndmask_b32_e64 v15, v15, v12, s2
	;; [unrolled: 1-line block ×4, first 2 shown]
	v_alignbit_b32 v18, v11, v15, v17
	v_alignbit_b32 v14, v15, v12, v17
	;; [unrolled: 1-line block ×3, first 2 shown]
	v_cndmask_b32_e32 v5, v18, v11, vcc_lo
	v_cndmask_b32_e32 v11, v14, v15, vcc_lo
	;; [unrolled: 1-line block ×3, first 2 shown]
	v_bfe_u32 v13, v5, 29, 1
	v_alignbit_b32 v14, v5, v11, 30
	v_alignbit_b32 v11, v11, v12, 30
	;; [unrolled: 1-line block ×3, first 2 shown]
	v_sub_nc_u32_e32 v15, 0, v13
	v_xor_b32_e32 v14, v14, v15
	v_xor_b32_e32 v11, v11, v15
	;; [unrolled: 1-line block ×3, first 2 shown]
	v_lshrrev_b32_e32 v15, 29, v5
	v_ffbh_u32_e32 v16, v14
	v_min_u32_e32 v16, 32, v16
	v_sub_nc_u32_e32 v12, 31, v16
	v_lshlrev_b32_e32 v17, 23, v16
	v_alignbit_b32 v14, v14, v11, v12
	v_alignbit_b32 v10, v11, v10, v12
	v_lshlrev_b32_e32 v11, 31, v15
	v_alignbit_b32 v12, v14, v10, 9
	v_or_b32_e32 v15, 0.5, v11
	v_lshrrev_b32_e32 v14, 9, v14
	v_or_b32_e32 v11, 0x33000000, v11
	v_ffbh_u32_e32 v18, v12
	v_sub_nc_u32_e32 v15, v15, v17
	v_min_u32_e32 v17, 32, v18
	v_or_b32_e32 v14, v14, v15
	v_not_b32_e32 v15, v17
	v_mul_f32_e32 v18, 0x3fc90fda, v14
	v_add_lshl_u32 v16, v17, v16, 23
	v_alignbit_b32 v10, v12, v10, v15
	v_fma_f32 v12, 0x3fc90fda, v14, -v18
	v_sub_nc_u32_e32 v11, v11, v16
	v_lshrrev_b32_e32 v10, 9, v10
	v_fmamk_f32 v12, v14, 0x33a22168, v12
	v_or_b32_e32 v10, v11, v10
	v_fmac_f32_e32 v12, 0x3fc90fda, v10
	v_lshrrev_b32_e32 v10, 30, v5
	v_add_f32_e32 v5, v18, v12
	v_add_nc_u32_e32 v10, v13, v10
.LBB9_80:
	s_andn2_saveexec_b32 s1, s10
; %bb.81:
	v_mul_f32_e64 v5, 0x3f22f983, |v9|
	v_rndne_f32_e32 v10, v5
	v_fma_f32 v5, 0xbfc90fda, v10, |v9|
	v_fmamk_f32 v5, v10, 0xb3a22168, v5
	v_fmamk_f32 v5, v10, 0xa7c234c4, v5
	v_cvt_i32_f32_e32 v10, v10
; %bb.82:
	s_or_b32 exec_lo, exec_lo, s1
	v_mul_f32_e32 v11, v5, v5
	s_mov_b32 s1, 0xb94c1982
	s_mov_b32 s2, 0x37d75334
	v_and_b32_e32 v14, 1, v10
	v_lshlrev_b32_e32 v10, 30, v10
	v_fmaak_f32 v12, s1, v11, 0x3c0881c4
	v_fmaak_f32 v13, s2, v11, 0xbab64f3b
	v_xor_b32_e32 v3, v3, v9
	v_cmp_eq_u32_e32 vcc_lo, 0, v14
	v_and_b32_e32 v10, 0x80000000, v10
	v_fmaak_f32 v12, v11, v12, 0xbe2aaa9d
	v_fmaak_f32 v13, v11, v13, 0x3d2aabf7
	v_mul_f32_e32 v12, v11, v12
	v_fmaak_f32 v13, v11, v13, 0xbf000004
	v_fmac_f32_e32 v5, v5, v12
	v_fma_f32 v11, v11, v13, 1.0
	v_cndmask_b32_e32 v5, v11, v5, vcc_lo
	v_cmp_class_f32_e64 vcc_lo, v9, 0x1f8
	v_xor3_b32 v3, v3, v10, v5
	v_cndmask_b32_e32 v3, 0x7fc00000, v3, vcc_lo
	v_div_scale_f32 v5, null, v9, v9, v3
	v_rcp_f32_e32 v10, v5
	v_fma_f32 v11, -v5, v10, 1.0
	v_fmac_f32_e32 v10, v11, v10
	v_div_scale_f32 v11, vcc_lo, v3, v9, v3
	v_mul_f32_e32 v12, v11, v10
	v_fma_f32 v13, -v5, v12, v11
	v_fmac_f32_e32 v12, v13, v10
	v_fma_f32 v5, -v5, v12, v11
	v_div_fmas_f32 v5, v5, v10, v12
	v_div_fixup_f32 v3, v5, v9, v3
                                        ; implicit-def: $vgpr9
.LBB9_83:
	s_andn2_saveexec_b32 s1, s7
	s_cbranch_execz .LBB9_85
; %bb.84:
	v_mul_f32_e32 v3, v9, v9
	s_mov_b32 s2, 0x2f309231
	v_fmaak_f32 v5, s2, v3, 0xb2d7322b
	v_fmaak_f32 v5, v3, v5, 0x3638ef1d
	;; [unrolled: 1-line block ×5, first 2 shown]
	v_fma_f32 v3, v3, v5, 1.0
.LBB9_85:
	s_or_b32 exec_lo, exec_lo, s1
.LBB9_86:
	s_or_b32 exec_lo, exec_lo, s5
.LBB9_87:
	s_or_b32 exec_lo, exec_lo, s3
	v_or_b32_e32 v5, 0x300, v0
	s_mov_b32 s3, exec_lo
	v_cmpx_gt_i32_e64 s6, v5
	s_cbranch_execnz .LBB9_94
; %bb.88:
	s_or_b32 exec_lo, exec_lo, s3
	s_and_saveexec_b32 s1, s0
	s_xor_b32 s0, exec_lo, s1
	s_cbranch_execnz .LBB9_105
.LBB9_89:
	s_or_b32 exec_lo, exec_lo, s0
	s_mov_b32 s0, exec_lo
	v_cmpx_gt_i32_e64 s6, v0
	s_cbranch_execnz .LBB9_106
.LBB9_90:
	s_or_b32 exec_lo, exec_lo, s0
	s_mov_b32 s0, exec_lo
	v_cmpx_gt_i32_e64 s6, v0
	s_cbranch_execnz .LBB9_107
.LBB9_91:
	s_or_b32 exec_lo, exec_lo, s0
	s_mov_b32 s0, exec_lo
	v_cmpx_gt_i32_e64 s6, v0
	s_cbranch_execz .LBB9_93
.LBB9_92:
	v_add_nc_u32_e32 v0, s4, v0
	v_mov_b32_e32 v1, 0
	v_lshlrev_b64 v[0:1], 2, v[0:1]
	v_add_co_u32 v0, vcc_lo, s8, v0
	v_add_co_ci_u32_e64 v1, null, s9, v1, vcc_lo
	global_store_dword v[0:1], v4, off
.LBB9_93:
	s_endpgm
.LBB9_94:
	v_mov_b32_e32 v4, 0
	s_mov_b32 s5, exec_lo
	v_cmpx_neq_f32_e64 0x7f800000, |v7|
	s_cbranch_execz .LBB9_104
; %bb.95:
	s_mov_b32 s2, exec_lo
	v_cmpx_nlt_f32_e64 |v7|, 0.5
	s_xor_b32 s7, exec_lo, s2
	s_cbranch_execz .LBB9_101
; %bb.96:
	v_and_b32_e32 v4, 0x7fffffff, v7
                                        ; implicit-def: $vgpr9
                                        ; implicit-def: $vgpr5
	s_mov_b32 s2, exec_lo
	v_cmpx_ngt_f32_e64 0x48000000, |v7|
	s_xor_b32 s10, exec_lo, s2
	s_cbranch_execz .LBB9_98
; %bb.97:
	s_mov_b32 s1, 0x7fffff
	v_mov_b32_e32 v11, 0
	v_and_or_b32 v5, v4, s1, 0x800000
	v_lshrrev_b32_e32 v16, 23, v4
	v_mad_u64_u32 v[9:10], null, 0xfe5163ab, v5, 0
	v_add_nc_u32_e32 v17, 0xffffff88, v16
	v_cmp_lt_u32_e32 vcc_lo, 63, v17
	v_mad_u64_u32 v[12:13], null, 0x3c439041, v5, v[10:11]
	v_cndmask_b32_e64 v18, 0, 0xffffffc0, vcc_lo
	v_mov_b32_e32 v10, v13
	v_add_nc_u32_e32 v18, v18, v17
	v_mad_u64_u32 v[13:14], null, 0xdb629599, v5, v[10:11]
	v_cmp_lt_u32_e64 s1, 31, v18
	v_cndmask_b32_e64 v19, 0, 0xffffffe0, s1
	v_mov_b32_e32 v10, v14
	v_cndmask_b32_e32 v9, v13, v9, vcc_lo
	v_mad_u64_u32 v[14:15], null, 0xf534ddc0, v5, v[10:11]
	v_mov_b32_e32 v10, v15
	v_cndmask_b32_e32 v12, v14, v12, vcc_lo
	v_mad_u64_u32 v[15:16], null, 0xfc2757d1, v5, v[10:11]
	v_cndmask_b32_e64 v9, v12, v9, s1
	v_mov_b32_e32 v10, v16
	v_mad_u64_u32 v[16:17], null, 0x4e441529, v5, v[10:11]
	v_mov_b32_e32 v10, v17
	v_add_nc_u32_e32 v17, v19, v18
	v_cndmask_b32_e32 v18, v16, v14, vcc_lo
	v_mad_u64_u32 v[10:11], null, 0xa2f9836e, v5, v[10:11]
	v_cmp_lt_u32_e64 s2, 31, v17
	v_cndmask_b32_e64 v5, 0, 0xffffffe0, s2
	v_cndmask_b32_e32 v10, v10, v15, vcc_lo
	v_cndmask_b32_e32 v11, v11, v16, vcc_lo
	;; [unrolled: 1-line block ×3, first 2 shown]
	v_add_nc_u32_e32 v5, v5, v17
	v_cndmask_b32_e64 v14, v10, v18, s1
	v_cndmask_b32_e64 v10, v11, v10, s1
	;; [unrolled: 1-line block ×4, first 2 shown]
	v_sub_nc_u32_e32 v16, 32, v5
	v_cmp_eq_u32_e32 vcc_lo, 0, v5
	v_cndmask_b32_e64 v10, v10, v14, s2
	v_cndmask_b32_e64 v14, v14, v11, s2
	;; [unrolled: 1-line block ×4, first 2 shown]
	v_alignbit_b32 v17, v10, v14, v16
	v_alignbit_b32 v13, v14, v11, v16
	;; [unrolled: 1-line block ×3, first 2 shown]
	v_cndmask_b32_e32 v5, v17, v10, vcc_lo
	v_cndmask_b32_e32 v10, v13, v14, vcc_lo
	;; [unrolled: 1-line block ×3, first 2 shown]
	v_bfe_u32 v12, v5, 29, 1
	v_alignbit_b32 v13, v5, v10, 30
	v_alignbit_b32 v10, v10, v11, 30
	;; [unrolled: 1-line block ×3, first 2 shown]
	v_sub_nc_u32_e32 v14, 0, v12
	v_xor_b32_e32 v13, v13, v14
	v_xor_b32_e32 v10, v10, v14
	;; [unrolled: 1-line block ×3, first 2 shown]
	v_lshrrev_b32_e32 v14, 29, v5
	v_ffbh_u32_e32 v15, v13
	v_min_u32_e32 v15, 32, v15
	v_sub_nc_u32_e32 v11, 31, v15
	v_lshlrev_b32_e32 v16, 23, v15
	v_alignbit_b32 v13, v13, v10, v11
	v_alignbit_b32 v9, v10, v9, v11
	v_lshlrev_b32_e32 v10, 31, v14
	v_alignbit_b32 v11, v13, v9, 9
	v_or_b32_e32 v14, 0.5, v10
	v_lshrrev_b32_e32 v13, 9, v13
	v_or_b32_e32 v10, 0x33000000, v10
	v_ffbh_u32_e32 v17, v11
	v_sub_nc_u32_e32 v14, v14, v16
	v_min_u32_e32 v16, 32, v17
	v_or_b32_e32 v13, v13, v14
	v_not_b32_e32 v14, v16
	v_mul_f32_e32 v17, 0x3fc90fda, v13
	v_add_lshl_u32 v15, v16, v15, 23
	v_alignbit_b32 v9, v11, v9, v14
	v_fma_f32 v11, 0x3fc90fda, v13, -v17
	v_sub_nc_u32_e32 v10, v10, v15
	v_lshrrev_b32_e32 v9, 9, v9
	v_fmamk_f32 v11, v13, 0x33a22168, v11
	v_or_b32_e32 v9, v10, v9
	v_fmac_f32_e32 v11, 0x3fc90fda, v9
	v_lshrrev_b32_e32 v9, 30, v5
	v_add_f32_e32 v5, v17, v11
	v_add_nc_u32_e32 v9, v12, v9
.LBB9_98:
	s_andn2_saveexec_b32 s1, s10
; %bb.99:
	v_mul_f32_e64 v5, 0x3f22f983, |v7|
	v_rndne_f32_e32 v9, v5
	v_fma_f32 v5, 0xbfc90fda, v9, |v7|
	v_fmamk_f32 v5, v9, 0xb3a22168, v5
	v_fmamk_f32 v5, v9, 0xa7c234c4, v5
	v_cvt_i32_f32_e32 v9, v9
; %bb.100:
	s_or_b32 exec_lo, exec_lo, s1
	v_mul_f32_e32 v10, v5, v5
	s_mov_b32 s1, 0xb94c1982
	s_mov_b32 s2, 0x37d75334
	v_and_b32_e32 v13, 1, v9
	v_lshlrev_b32_e32 v9, 30, v9
	v_fmaak_f32 v11, s1, v10, 0x3c0881c4
	v_fmaak_f32 v12, s2, v10, 0xbab64f3b
	v_xor_b32_e32 v4, v4, v7
	v_cmp_eq_u32_e32 vcc_lo, 0, v13
	v_and_b32_e32 v9, 0x80000000, v9
	v_fmaak_f32 v11, v10, v11, 0xbe2aaa9d
	v_fmaak_f32 v12, v10, v12, 0x3d2aabf7
	v_mul_f32_e32 v11, v10, v11
	v_fmaak_f32 v12, v10, v12, 0xbf000004
	v_fmac_f32_e32 v5, v5, v11
	v_fma_f32 v10, v10, v12, 1.0
	v_cndmask_b32_e32 v5, v10, v5, vcc_lo
	v_cmp_class_f32_e64 vcc_lo, v7, 0x1f8
	v_xor3_b32 v4, v4, v9, v5
	v_cndmask_b32_e32 v4, 0x7fc00000, v4, vcc_lo
	v_div_scale_f32 v5, null, v7, v7, v4
	v_rcp_f32_e32 v9, v5
	v_fma_f32 v10, -v5, v9, 1.0
	v_fmac_f32_e32 v9, v10, v9
	v_div_scale_f32 v10, vcc_lo, v4, v7, v4
	v_mul_f32_e32 v11, v10, v9
	v_fma_f32 v12, -v5, v11, v10
	v_fmac_f32_e32 v11, v12, v9
	v_fma_f32 v5, -v5, v11, v10
	v_div_fmas_f32 v5, v5, v9, v11
	v_div_fixup_f32 v4, v5, v7, v4
                                        ; implicit-def: $vgpr7
.LBB9_101:
	s_andn2_saveexec_b32 s1, s7
	s_cbranch_execz .LBB9_103
; %bb.102:
	v_mul_f32_e32 v4, v7, v7
	s_mov_b32 s2, 0x2f309231
	v_fmaak_f32 v5, s2, v4, 0xb2d7322b
	v_fmaak_f32 v5, v4, v5, 0x3638ef1d
	;; [unrolled: 1-line block ×5, first 2 shown]
	v_fma_f32 v4, v4, v5, 1.0
.LBB9_103:
	s_or_b32 exec_lo, exec_lo, s1
.LBB9_104:
	s_or_b32 exec_lo, exec_lo, s5
	s_or_b32 exec_lo, exec_lo, s3
	s_and_saveexec_b32 s1, s0
	s_xor_b32 s0, exec_lo, s1
	s_cbranch_execz .LBB9_89
.LBB9_105:
	v_mov_b32_e32 v7, 0
	v_mov_b32_e32 v0, v8
	v_lshlrev_b64 v[5:6], 2, v[6:7]
	v_add_co_u32 v5, vcc_lo, s8, v5
	v_add_co_ci_u32_e64 v6, null, s9, v6, vcc_lo
	global_store_dword v[5:6], v1, off
	s_or_b32 exec_lo, exec_lo, s0
	s_mov_b32 s0, exec_lo
	v_cmpx_gt_i32_e64 s6, v0
	s_cbranch_execz .LBB9_90
.LBB9_106:
	v_add_nc_u32_e32 v5, s4, v0
	v_mov_b32_e32 v6, 0
	v_add_nc_u32_e32 v0, 0x100, v0
	v_lshlrev_b64 v[5:6], 2, v[5:6]
	v_add_co_u32 v5, vcc_lo, s8, v5
	v_add_co_ci_u32_e64 v6, null, s9, v6, vcc_lo
	global_store_dword v[5:6], v2, off
	s_or_b32 exec_lo, exec_lo, s0
	s_mov_b32 s0, exec_lo
	v_cmpx_gt_i32_e64 s6, v0
	s_cbranch_execz .LBB9_91
.LBB9_107:
	v_add_nc_u32_e32 v1, s4, v0
	v_mov_b32_e32 v2, 0
	v_add_nc_u32_e32 v0, 0x100, v0
	v_lshlrev_b64 v[1:2], 2, v[1:2]
	v_add_co_u32 v1, vcc_lo, s8, v1
	v_add_co_ci_u32_e64 v2, null, s9, v2, vcc_lo
	global_store_dword v[1:2], v3, off
	s_or_b32 exec_lo, exec_lo, s0
	s_mov_b32 s0, exec_lo
	v_cmpx_gt_i32_e64 s6, v0
	s_cbranch_execnz .LBB9_92
	s_branch .LBB9_93
	.section	.rodata,"a",@progbits
	.p2align	6, 0x0
	.amdhsa_kernel _ZN2at6native29vectorized_elementwise_kernelILi8EZZZNS0_12_GLOBAL__N_131spherical_bessel_j0_kernel_cudaERNS_18TensorIteratorBaseEENKUlvE_clEvENKUlvE0_clEvEUlfE_St5arrayIPcLm2EEEEviT0_T1_
		.amdhsa_group_segment_fixed_size 0
		.amdhsa_private_segment_fixed_size 0
		.amdhsa_kernarg_size 24
		.amdhsa_user_sgpr_count 6
		.amdhsa_user_sgpr_private_segment_buffer 1
		.amdhsa_user_sgpr_dispatch_ptr 0
		.amdhsa_user_sgpr_queue_ptr 0
		.amdhsa_user_sgpr_kernarg_segment_ptr 1
		.amdhsa_user_sgpr_dispatch_id 0
		.amdhsa_user_sgpr_flat_scratch_init 0
		.amdhsa_user_sgpr_private_segment_size 0
		.amdhsa_wavefront_size32 1
		.amdhsa_uses_dynamic_stack 0
		.amdhsa_system_sgpr_private_segment_wavefront_offset 0
		.amdhsa_system_sgpr_workgroup_id_x 1
		.amdhsa_system_sgpr_workgroup_id_y 0
		.amdhsa_system_sgpr_workgroup_id_z 0
		.amdhsa_system_sgpr_workgroup_info 0
		.amdhsa_system_vgpr_workitem_id 0
		.amdhsa_next_free_vgpr 22
		.amdhsa_next_free_sgpr 13
		.amdhsa_reserve_vcc 1
		.amdhsa_reserve_flat_scratch 0
		.amdhsa_float_round_mode_32 0
		.amdhsa_float_round_mode_16_64 0
		.amdhsa_float_denorm_mode_32 3
		.amdhsa_float_denorm_mode_16_64 3
		.amdhsa_dx10_clamp 1
		.amdhsa_ieee_mode 1
		.amdhsa_fp16_overflow 0
		.amdhsa_workgroup_processor_mode 1
		.amdhsa_memory_ordered 1
		.amdhsa_forward_progress 1
		.amdhsa_shared_vgpr_count 0
		.amdhsa_exception_fp_ieee_invalid_op 0
		.amdhsa_exception_fp_denorm_src 0
		.amdhsa_exception_fp_ieee_div_zero 0
		.amdhsa_exception_fp_ieee_overflow 0
		.amdhsa_exception_fp_ieee_underflow 0
		.amdhsa_exception_fp_ieee_inexact 0
		.amdhsa_exception_int_div_zero 0
	.end_amdhsa_kernel
	.section	.text._ZN2at6native29vectorized_elementwise_kernelILi8EZZZNS0_12_GLOBAL__N_131spherical_bessel_j0_kernel_cudaERNS_18TensorIteratorBaseEENKUlvE_clEvENKUlvE0_clEvEUlfE_St5arrayIPcLm2EEEEviT0_T1_,"axG",@progbits,_ZN2at6native29vectorized_elementwise_kernelILi8EZZZNS0_12_GLOBAL__N_131spherical_bessel_j0_kernel_cudaERNS_18TensorIteratorBaseEENKUlvE_clEvENKUlvE0_clEvEUlfE_St5arrayIPcLm2EEEEviT0_T1_,comdat
.Lfunc_end9:
	.size	_ZN2at6native29vectorized_elementwise_kernelILi8EZZZNS0_12_GLOBAL__N_131spherical_bessel_j0_kernel_cudaERNS_18TensorIteratorBaseEENKUlvE_clEvENKUlvE0_clEvEUlfE_St5arrayIPcLm2EEEEviT0_T1_, .Lfunc_end9-_ZN2at6native29vectorized_elementwise_kernelILi8EZZZNS0_12_GLOBAL__N_131spherical_bessel_j0_kernel_cudaERNS_18TensorIteratorBaseEENKUlvE_clEvENKUlvE0_clEvEUlfE_St5arrayIPcLm2EEEEviT0_T1_
                                        ; -- End function
	.set _ZN2at6native29vectorized_elementwise_kernelILi8EZZZNS0_12_GLOBAL__N_131spherical_bessel_j0_kernel_cudaERNS_18TensorIteratorBaseEENKUlvE_clEvENKUlvE0_clEvEUlfE_St5arrayIPcLm2EEEEviT0_T1_.num_vgpr, 22
	.set _ZN2at6native29vectorized_elementwise_kernelILi8EZZZNS0_12_GLOBAL__N_131spherical_bessel_j0_kernel_cudaERNS_18TensorIteratorBaseEENKUlvE_clEvENKUlvE0_clEvEUlfE_St5arrayIPcLm2EEEEviT0_T1_.num_agpr, 0
	.set _ZN2at6native29vectorized_elementwise_kernelILi8EZZZNS0_12_GLOBAL__N_131spherical_bessel_j0_kernel_cudaERNS_18TensorIteratorBaseEENKUlvE_clEvENKUlvE0_clEvEUlfE_St5arrayIPcLm2EEEEviT0_T1_.numbered_sgpr, 13
	.set _ZN2at6native29vectorized_elementwise_kernelILi8EZZZNS0_12_GLOBAL__N_131spherical_bessel_j0_kernel_cudaERNS_18TensorIteratorBaseEENKUlvE_clEvENKUlvE0_clEvEUlfE_St5arrayIPcLm2EEEEviT0_T1_.num_named_barrier, 0
	.set _ZN2at6native29vectorized_elementwise_kernelILi8EZZZNS0_12_GLOBAL__N_131spherical_bessel_j0_kernel_cudaERNS_18TensorIteratorBaseEENKUlvE_clEvENKUlvE0_clEvEUlfE_St5arrayIPcLm2EEEEviT0_T1_.private_seg_size, 0
	.set _ZN2at6native29vectorized_elementwise_kernelILi8EZZZNS0_12_GLOBAL__N_131spherical_bessel_j0_kernel_cudaERNS_18TensorIteratorBaseEENKUlvE_clEvENKUlvE0_clEvEUlfE_St5arrayIPcLm2EEEEviT0_T1_.uses_vcc, 1
	.set _ZN2at6native29vectorized_elementwise_kernelILi8EZZZNS0_12_GLOBAL__N_131spherical_bessel_j0_kernel_cudaERNS_18TensorIteratorBaseEENKUlvE_clEvENKUlvE0_clEvEUlfE_St5arrayIPcLm2EEEEviT0_T1_.uses_flat_scratch, 0
	.set _ZN2at6native29vectorized_elementwise_kernelILi8EZZZNS0_12_GLOBAL__N_131spherical_bessel_j0_kernel_cudaERNS_18TensorIteratorBaseEENKUlvE_clEvENKUlvE0_clEvEUlfE_St5arrayIPcLm2EEEEviT0_T1_.has_dyn_sized_stack, 0
	.set _ZN2at6native29vectorized_elementwise_kernelILi8EZZZNS0_12_GLOBAL__N_131spherical_bessel_j0_kernel_cudaERNS_18TensorIteratorBaseEENKUlvE_clEvENKUlvE0_clEvEUlfE_St5arrayIPcLm2EEEEviT0_T1_.has_recursion, 0
	.set _ZN2at6native29vectorized_elementwise_kernelILi8EZZZNS0_12_GLOBAL__N_131spherical_bessel_j0_kernel_cudaERNS_18TensorIteratorBaseEENKUlvE_clEvENKUlvE0_clEvEUlfE_St5arrayIPcLm2EEEEviT0_T1_.has_indirect_call, 0
	.section	.AMDGPU.csdata,"",@progbits
; Kernel info:
; codeLenInByte = 8628
; TotalNumSgprs: 15
; NumVgprs: 22
; ScratchSize: 0
; MemoryBound: 0
; FloatMode: 240
; IeeeMode: 1
; LDSByteSize: 0 bytes/workgroup (compile time only)
; SGPRBlocks: 0
; VGPRBlocks: 2
; NumSGPRsForWavesPerEU: 15
; NumVGPRsForWavesPerEU: 22
; Occupancy: 16
; WaveLimiterHint : 0
; COMPUTE_PGM_RSRC2:SCRATCH_EN: 0
; COMPUTE_PGM_RSRC2:USER_SGPR: 6
; COMPUTE_PGM_RSRC2:TRAP_HANDLER: 0
; COMPUTE_PGM_RSRC2:TGID_X_EN: 1
; COMPUTE_PGM_RSRC2:TGID_Y_EN: 0
; COMPUTE_PGM_RSRC2:TGID_Z_EN: 0
; COMPUTE_PGM_RSRC2:TIDIG_COMP_CNT: 0
	.section	.text._ZN2at6native29vectorized_elementwise_kernelILi4EZZZNS0_12_GLOBAL__N_131spherical_bessel_j0_kernel_cudaERNS_18TensorIteratorBaseEENKUlvE_clEvENKUlvE0_clEvEUlfE_St5arrayIPcLm2EEEEviT0_T1_,"axG",@progbits,_ZN2at6native29vectorized_elementwise_kernelILi4EZZZNS0_12_GLOBAL__N_131spherical_bessel_j0_kernel_cudaERNS_18TensorIteratorBaseEENKUlvE_clEvENKUlvE0_clEvEUlfE_St5arrayIPcLm2EEEEviT0_T1_,comdat
	.globl	_ZN2at6native29vectorized_elementwise_kernelILi4EZZZNS0_12_GLOBAL__N_131spherical_bessel_j0_kernel_cudaERNS_18TensorIteratorBaseEENKUlvE_clEvENKUlvE0_clEvEUlfE_St5arrayIPcLm2EEEEviT0_T1_ ; -- Begin function _ZN2at6native29vectorized_elementwise_kernelILi4EZZZNS0_12_GLOBAL__N_131spherical_bessel_j0_kernel_cudaERNS_18TensorIteratorBaseEENKUlvE_clEvENKUlvE0_clEvEUlfE_St5arrayIPcLm2EEEEviT0_T1_
	.p2align	8
	.type	_ZN2at6native29vectorized_elementwise_kernelILi4EZZZNS0_12_GLOBAL__N_131spherical_bessel_j0_kernel_cudaERNS_18TensorIteratorBaseEENKUlvE_clEvENKUlvE0_clEvEUlfE_St5arrayIPcLm2EEEEviT0_T1_,@function
_ZN2at6native29vectorized_elementwise_kernelILi4EZZZNS0_12_GLOBAL__N_131spherical_bessel_j0_kernel_cudaERNS_18TensorIteratorBaseEENKUlvE_clEvENKUlvE0_clEvEUlfE_St5arrayIPcLm2EEEEviT0_T1_: ; @_ZN2at6native29vectorized_elementwise_kernelILi4EZZZNS0_12_GLOBAL__N_131spherical_bessel_j0_kernel_cudaERNS_18TensorIteratorBaseEENKUlvE_clEvENKUlvE0_clEvEUlfE_St5arrayIPcLm2EEEEviT0_T1_
; %bb.0:
	s_clause 0x1
	s_load_dword s0, s[4:5], 0x0
	s_load_dwordx4 s[8:11], s[4:5], 0x8
	s_lshl_b32 s4, s6, 10
	s_waitcnt lgkmcnt(0)
	s_sub_i32 s6, s0, s4
	s_mov_b32 s0, -1
	s_cmpk_gt_i32 s6, 0x3ff
	s_cbranch_scc0 .LBB10_42
; %bb.1:
	s_ashr_i32 s5, s4, 31
	v_lshlrev_b32_e32 v9, 4, v0
	s_lshl_b64 s[2:3], s[4:5], 2
	v_mov_b32_e32 v2, 0
	s_add_u32 s0, s10, s2
	s_addc_u32 s1, s11, s3
	v_mov_b32_e32 v1, 0
	global_load_dwordx4 v[5:8], v9, s[0:1]
	s_mov_b32 s5, exec_lo
	s_waitcnt vmcnt(0)
	v_cmpx_neq_f32_e64 0x7f800000, |v5|
	s_cbranch_execz .LBB10_11
; %bb.2:
	s_mov_b32 s1, exec_lo
	v_cmpx_nlt_f32_e64 |v5|, 0.5
	s_xor_b32 s7, exec_lo, s1
	s_cbranch_execz .LBB10_8
; %bb.3:
	v_and_b32_e32 v1, 0x7fffffff, v5
                                        ; implicit-def: $vgpr4
                                        ; implicit-def: $vgpr3
	s_mov_b32 s1, exec_lo
	v_cmpx_ngt_f32_e64 0x48000000, |v5|
	s_xor_b32 s12, exec_lo, s1
	s_cbranch_execz .LBB10_5
; %bb.4:
	s_mov_b32 s0, 0x7fffff
	v_mov_b32_e32 v11, 0
	v_and_or_b32 v18, v1, s0, 0x800000
	v_mad_u64_u32 v[3:4], null, 0xfe5163ab, v18, 0
	v_mov_b32_e32 v10, v4
	v_lshrrev_b32_e32 v4, 23, v1
	v_mad_u64_u32 v[12:13], null, 0x3c439041, v18, v[10:11]
	v_add_nc_u32_e32 v4, 0xffffff88, v4
	v_cmp_lt_u32_e32 vcc_lo, 63, v4
	v_mov_b32_e32 v10, v13
	v_cndmask_b32_e64 v17, 0, 0xffffffc0, vcc_lo
	v_mad_u64_u32 v[13:14], null, 0xdb629599, v18, v[10:11]
	v_add_nc_u32_e32 v4, v17, v4
	v_mov_b32_e32 v10, v14
	v_cmp_lt_u32_e64 s0, 31, v4
	v_cndmask_b32_e32 v3, v13, v3, vcc_lo
	v_mad_u64_u32 v[14:15], null, 0xf534ddc0, v18, v[10:11]
	v_cndmask_b32_e64 v19, 0, 0xffffffe0, s0
	v_add_nc_u32_e32 v4, v19, v4
	v_mov_b32_e32 v10, v15
	v_cndmask_b32_e32 v12, v14, v12, vcc_lo
	v_cmp_lt_u32_e64 s1, 31, v4
	v_mad_u64_u32 v[15:16], null, 0xfc2757d1, v18, v[10:11]
	v_cndmask_b32_e64 v3, v12, v3, s0
	v_mov_b32_e32 v10, v16
	v_mad_u64_u32 v[16:17], null, 0x4e441529, v18, v[10:11]
	v_mov_b32_e32 v10, v17
	v_cndmask_b32_e64 v17, 0, 0xffffffe0, s1
	v_mad_u64_u32 v[10:11], null, 0xa2f9836e, v18, v[10:11]
	v_cndmask_b32_e32 v18, v16, v14, vcc_lo
	v_add_nc_u32_e32 v4, v17, v4
	v_cndmask_b32_e32 v10, v10, v15, vcc_lo
	v_cndmask_b32_e32 v11, v11, v16, vcc_lo
	;; [unrolled: 1-line block ×3, first 2 shown]
	v_sub_nc_u32_e32 v16, 32, v4
	v_cmp_eq_u32_e32 vcc_lo, 0, v4
	v_cndmask_b32_e64 v14, v10, v18, s0
	v_cndmask_b32_e64 v10, v11, v10, s0
	;; [unrolled: 1-line block ×8, first 2 shown]
	v_alignbit_b32 v17, v10, v14, v16
	v_alignbit_b32 v13, v14, v11, v16
	;; [unrolled: 1-line block ×3, first 2 shown]
	v_cndmask_b32_e32 v4, v17, v10, vcc_lo
	v_cndmask_b32_e32 v10, v13, v14, vcc_lo
	;; [unrolled: 1-line block ×3, first 2 shown]
	v_bfe_u32 v12, v4, 29, 1
	v_alignbit_b32 v13, v4, v10, 30
	v_alignbit_b32 v10, v10, v11, 30
	;; [unrolled: 1-line block ×3, first 2 shown]
	v_sub_nc_u32_e32 v14, 0, v12
	v_xor_b32_e32 v13, v13, v14
	v_xor_b32_e32 v10, v10, v14
	v_xor_b32_e32 v3, v3, v14
	v_lshrrev_b32_e32 v14, 29, v4
	v_lshrrev_b32_e32 v4, 30, v4
	v_ffbh_u32_e32 v15, v13
	v_add_nc_u32_e32 v4, v12, v4
	v_min_u32_e32 v15, 32, v15
	v_sub_nc_u32_e32 v11, 31, v15
	v_lshlrev_b32_e32 v16, 23, v15
	v_alignbit_b32 v13, v13, v10, v11
	v_alignbit_b32 v3, v10, v3, v11
	v_lshlrev_b32_e32 v10, 31, v14
	v_alignbit_b32 v11, v13, v3, 9
	v_or_b32_e32 v14, 0.5, v10
	v_lshrrev_b32_e32 v13, 9, v13
	v_or_b32_e32 v10, 0x33000000, v10
	v_ffbh_u32_e32 v17, v11
	v_sub_nc_u32_e32 v14, v14, v16
	v_min_u32_e32 v16, 32, v17
	v_or_b32_e32 v13, v13, v14
	v_not_b32_e32 v14, v16
	v_mul_f32_e32 v17, 0x3fc90fda, v13
	v_add_lshl_u32 v15, v16, v15, 23
	v_alignbit_b32 v3, v11, v3, v14
	v_fma_f32 v11, 0x3fc90fda, v13, -v17
	v_sub_nc_u32_e32 v10, v10, v15
	v_lshrrev_b32_e32 v3, 9, v3
	v_fmamk_f32 v11, v13, 0x33a22168, v11
	v_or_b32_e32 v3, v10, v3
	v_fmac_f32_e32 v11, 0x3fc90fda, v3
	v_add_f32_e32 v3, v17, v11
.LBB10_5:
	s_andn2_saveexec_b32 s0, s12
; %bb.6:
	v_mul_f32_e64 v3, 0x3f22f983, |v5|
	v_rndne_f32_e32 v4, v3
	v_fma_f32 v3, 0xbfc90fda, v4, |v5|
	v_fmamk_f32 v3, v4, 0xb3a22168, v3
	v_fmamk_f32 v3, v4, 0xa7c234c4, v3
	v_cvt_i32_f32_e32 v4, v4
; %bb.7:
	s_or_b32 exec_lo, exec_lo, s0
	v_mul_f32_e32 v10, v3, v3
	s_mov_b32 s0, 0xb94c1982
	s_mov_b32 s1, 0x37d75334
	v_and_b32_e32 v13, 1, v4
	v_lshlrev_b32_e32 v4, 30, v4
	v_fmaak_f32 v11, s0, v10, 0x3c0881c4
	v_fmaak_f32 v12, s1, v10, 0xbab64f3b
	v_xor_b32_e32 v1, v1, v5
	v_cmp_eq_u32_e32 vcc_lo, 0, v13
	v_and_b32_e32 v4, 0x80000000, v4
	v_fmaak_f32 v11, v10, v11, 0xbe2aaa9d
	v_fmaak_f32 v12, v10, v12, 0x3d2aabf7
	v_mul_f32_e32 v11, v10, v11
	v_fmaak_f32 v12, v10, v12, 0xbf000004
	v_fmac_f32_e32 v3, v3, v11
	v_fma_f32 v10, v10, v12, 1.0
	v_cndmask_b32_e32 v3, v10, v3, vcc_lo
	v_cmp_class_f32_e64 vcc_lo, v5, 0x1f8
	v_xor3_b32 v1, v1, v4, v3
	v_cndmask_b32_e32 v1, 0x7fc00000, v1, vcc_lo
	v_div_scale_f32 v3, null, v5, v5, v1
	v_rcp_f32_e32 v4, v3
	v_fma_f32 v10, -v3, v4, 1.0
	v_fmac_f32_e32 v4, v10, v4
	v_div_scale_f32 v10, vcc_lo, v1, v5, v1
	v_mul_f32_e32 v11, v10, v4
	v_fma_f32 v12, -v3, v11, v10
	v_fmac_f32_e32 v11, v12, v4
	v_fma_f32 v3, -v3, v11, v10
	v_div_fmas_f32 v3, v3, v4, v11
	v_div_fixup_f32 v1, v3, v5, v1
.LBB10_8:
	s_andn2_saveexec_b32 s0, s7
	s_cbranch_execz .LBB10_10
; %bb.9:
	v_mul_f32_e32 v1, v5, v5
	s_mov_b32 s1, 0x2f309231
	v_fmaak_f32 v3, s1, v1, 0xb2d7322b
	v_fmaak_f32 v3, v1, v3, 0x3638ef1d
	;; [unrolled: 1-line block ×5, first 2 shown]
	v_fma_f32 v1, v1, v3, 1.0
.LBB10_10:
	s_or_b32 exec_lo, exec_lo, s0
.LBB10_11:
	s_or_b32 exec_lo, exec_lo, s5
	s_mov_b32 s5, exec_lo
	v_cmpx_neq_f32_e64 0x7f800000, |v6|
	s_cbranch_execz .LBB10_21
; %bb.12:
	s_mov_b32 s1, exec_lo
	v_cmpx_nlt_f32_e64 |v6|, 0.5
	s_xor_b32 s7, exec_lo, s1
	s_cbranch_execz .LBB10_18
; %bb.13:
	v_and_b32_e32 v2, 0x7fffffff, v6
                                        ; implicit-def: $vgpr4
                                        ; implicit-def: $vgpr3
	s_mov_b32 s1, exec_lo
	v_cmpx_ngt_f32_e64 0x48000000, |v6|
	s_xor_b32 s12, exec_lo, s1
	s_cbranch_execz .LBB10_15
; %bb.14:
	s_mov_b32 s0, 0x7fffff
	v_mov_b32_e32 v5, 0
	v_and_or_b32 v16, v2, s0, 0x800000
	v_lshrrev_b32_e32 v14, 23, v2
	v_mad_u64_u32 v[3:4], null, 0xfe5163ab, v16, 0
	v_add_nc_u32_e32 v15, 0xffffff88, v14
	v_cmp_lt_u32_e32 vcc_lo, 63, v15
	v_mad_u64_u32 v[10:11], null, 0x3c439041, v16, v[4:5]
	v_cndmask_b32_e64 v17, 0, 0xffffffc0, vcc_lo
	v_mov_b32_e32 v4, v11
	v_add_nc_u32_e32 v17, v17, v15
	v_mad_u64_u32 v[11:12], null, 0xdb629599, v16, v[4:5]
	v_cmp_lt_u32_e64 s0, 31, v17
	v_cndmask_b32_e64 v18, 0, 0xffffffe0, s0
	v_mov_b32_e32 v4, v12
	v_cndmask_b32_e32 v3, v11, v3, vcc_lo
	v_mad_u64_u32 v[12:13], null, 0xf534ddc0, v16, v[4:5]
	v_mov_b32_e32 v4, v13
	v_cndmask_b32_e32 v10, v12, v10, vcc_lo
	v_mad_u64_u32 v[13:14], null, 0xfc2757d1, v16, v[4:5]
	v_cndmask_b32_e64 v3, v10, v3, s0
	v_mov_b32_e32 v4, v14
	v_mad_u64_u32 v[14:15], null, 0x4e441529, v16, v[4:5]
	v_mov_b32_e32 v4, v15
	v_add_nc_u32_e32 v15, v18, v17
	v_cndmask_b32_e32 v17, v14, v12, vcc_lo
	v_mad_u64_u32 v[4:5], null, 0xa2f9836e, v16, v[4:5]
	v_cmp_lt_u32_e64 s1, 31, v15
	v_cndmask_b32_e64 v16, 0, 0xffffffe0, s1
	v_cndmask_b32_e32 v4, v4, v13, vcc_lo
	v_cndmask_b32_e32 v5, v5, v14, vcc_lo
	;; [unrolled: 1-line block ×3, first 2 shown]
	v_add_nc_u32_e32 v14, v16, v15
	v_cndmask_b32_e64 v12, v4, v17, s0
	v_cndmask_b32_e64 v4, v5, v4, s0
	;; [unrolled: 1-line block ×4, first 2 shown]
	v_sub_nc_u32_e32 v15, 32, v14
	v_cmp_eq_u32_e32 vcc_lo, 0, v14
	v_cndmask_b32_e64 v4, v4, v12, s1
	v_cndmask_b32_e64 v12, v12, v5, s1
	;; [unrolled: 1-line block ×4, first 2 shown]
	v_alignbit_b32 v16, v4, v12, v15
	v_alignbit_b32 v11, v12, v5, v15
	;; [unrolled: 1-line block ×3, first 2 shown]
	v_cndmask_b32_e32 v4, v16, v4, vcc_lo
	v_cndmask_b32_e32 v10, v11, v12, vcc_lo
	;; [unrolled: 1-line block ×3, first 2 shown]
	v_bfe_u32 v11, v4, 29, 1
	v_alignbit_b32 v12, v4, v10, 30
	v_alignbit_b32 v10, v10, v5, 30
	;; [unrolled: 1-line block ×3, first 2 shown]
	v_sub_nc_u32_e32 v13, 0, v11
	v_xor_b32_e32 v12, v12, v13
	v_xor_b32_e32 v5, v10, v13
	;; [unrolled: 1-line block ×3, first 2 shown]
	v_lshrrev_b32_e32 v13, 29, v4
	v_lshrrev_b32_e32 v4, 30, v4
	v_ffbh_u32_e32 v14, v12
	v_add_nc_u32_e32 v4, v11, v4
	v_min_u32_e32 v14, 32, v14
	v_sub_nc_u32_e32 v10, 31, v14
	v_lshlrev_b32_e32 v15, 23, v14
	v_alignbit_b32 v12, v12, v5, v10
	v_alignbit_b32 v3, v5, v3, v10
	v_lshlrev_b32_e32 v5, 31, v13
	v_alignbit_b32 v10, v12, v3, 9
	v_or_b32_e32 v13, 0.5, v5
	v_lshrrev_b32_e32 v12, 9, v12
	v_or_b32_e32 v5, 0x33000000, v5
	v_ffbh_u32_e32 v16, v10
	v_sub_nc_u32_e32 v13, v13, v15
	v_min_u32_e32 v15, 32, v16
	v_or_b32_e32 v12, v12, v13
	v_not_b32_e32 v13, v15
	v_mul_f32_e32 v16, 0x3fc90fda, v12
	v_add_lshl_u32 v14, v15, v14, 23
	v_alignbit_b32 v3, v10, v3, v13
	v_fma_f32 v10, 0x3fc90fda, v12, -v16
	v_sub_nc_u32_e32 v5, v5, v14
	v_lshrrev_b32_e32 v3, 9, v3
	v_fmamk_f32 v10, v12, 0x33a22168, v10
	v_or_b32_e32 v3, v5, v3
	v_fmac_f32_e32 v10, 0x3fc90fda, v3
	v_add_f32_e32 v3, v16, v10
.LBB10_15:
	s_andn2_saveexec_b32 s0, s12
; %bb.16:
	v_mul_f32_e64 v3, 0x3f22f983, |v6|
	v_rndne_f32_e32 v4, v3
	v_fma_f32 v3, 0xbfc90fda, v4, |v6|
	v_fmamk_f32 v3, v4, 0xb3a22168, v3
	v_fmamk_f32 v3, v4, 0xa7c234c4, v3
	v_cvt_i32_f32_e32 v4, v4
; %bb.17:
	s_or_b32 exec_lo, exec_lo, s0
	v_mul_f32_e32 v5, v3, v3
	s_mov_b32 s0, 0xb94c1982
	s_mov_b32 s1, 0x37d75334
	v_and_b32_e32 v12, 1, v4
	v_lshlrev_b32_e32 v4, 30, v4
	v_fmaak_f32 v10, s0, v5, 0x3c0881c4
	v_fmaak_f32 v11, s1, v5, 0xbab64f3b
	v_xor_b32_e32 v2, v2, v6
	v_cmp_eq_u32_e32 vcc_lo, 0, v12
	v_and_b32_e32 v4, 0x80000000, v4
	v_fmaak_f32 v10, v5, v10, 0xbe2aaa9d
	v_fmaak_f32 v11, v5, v11, 0x3d2aabf7
	v_mul_f32_e32 v10, v5, v10
	v_fmaak_f32 v11, v5, v11, 0xbf000004
	v_fmac_f32_e32 v3, v3, v10
	v_fma_f32 v5, v5, v11, 1.0
	v_cndmask_b32_e32 v3, v5, v3, vcc_lo
	v_cmp_class_f32_e64 vcc_lo, v6, 0x1f8
	v_xor3_b32 v2, v2, v4, v3
	v_cndmask_b32_e32 v2, 0x7fc00000, v2, vcc_lo
	v_div_scale_f32 v3, null, v6, v6, v2
	v_rcp_f32_e32 v4, v3
	v_fma_f32 v5, -v3, v4, 1.0
	v_fmac_f32_e32 v4, v5, v4
	v_div_scale_f32 v5, vcc_lo, v2, v6, v2
	v_mul_f32_e32 v10, v5, v4
	v_fma_f32 v11, -v3, v10, v5
	v_fmac_f32_e32 v10, v11, v4
	v_fma_f32 v3, -v3, v10, v5
	v_div_fmas_f32 v3, v3, v4, v10
	v_div_fixup_f32 v2, v3, v6, v2
.LBB10_18:
	s_andn2_saveexec_b32 s0, s7
	s_cbranch_execz .LBB10_20
; %bb.19:
	v_mul_f32_e32 v2, v6, v6
	s_mov_b32 s1, 0x2f309231
	v_fmaak_f32 v3, s1, v2, 0xb2d7322b
	v_fmaak_f32 v3, v2, v3, 0x3638ef1d
	;; [unrolled: 1-line block ×5, first 2 shown]
	v_fma_f32 v2, v2, v3, 1.0
.LBB10_20:
	s_or_b32 exec_lo, exec_lo, s0
.LBB10_21:
	s_or_b32 exec_lo, exec_lo, s5
	v_mov_b32_e32 v4, 0
	v_mov_b32_e32 v3, 0
	s_mov_b32 s5, exec_lo
	v_cmpx_neq_f32_e64 0x7f800000, |v7|
	s_cbranch_execz .LBB10_31
; %bb.22:
	s_mov_b32 s1, exec_lo
	v_cmpx_nlt_f32_e64 |v7|, 0.5
	s_xor_b32 s7, exec_lo, s1
	s_cbranch_execz .LBB10_28
; %bb.23:
	v_and_b32_e32 v3, 0x7fffffff, v7
                                        ; implicit-def: $vgpr6
                                        ; implicit-def: $vgpr5
	s_mov_b32 s1, exec_lo
	v_cmpx_ngt_f32_e64 0x48000000, |v7|
	s_xor_b32 s12, exec_lo, s1
	s_cbranch_execz .LBB10_25
; %bb.24:
	s_mov_b32 s0, 0x7fffff
	v_mov_b32_e32 v11, 0
	v_and_or_b32 v18, v3, s0, 0x800000
	v_mad_u64_u32 v[5:6], null, 0xfe5163ab, v18, 0
	v_mov_b32_e32 v10, v6
	v_lshrrev_b32_e32 v6, 23, v3
	v_mad_u64_u32 v[12:13], null, 0x3c439041, v18, v[10:11]
	v_add_nc_u32_e32 v6, 0xffffff88, v6
	v_cmp_lt_u32_e32 vcc_lo, 63, v6
	v_mov_b32_e32 v10, v13
	v_cndmask_b32_e64 v17, 0, 0xffffffc0, vcc_lo
	v_mad_u64_u32 v[13:14], null, 0xdb629599, v18, v[10:11]
	v_add_nc_u32_e32 v6, v17, v6
	v_mov_b32_e32 v10, v14
	v_cmp_lt_u32_e64 s0, 31, v6
	v_cndmask_b32_e32 v5, v13, v5, vcc_lo
	v_mad_u64_u32 v[14:15], null, 0xf534ddc0, v18, v[10:11]
	v_cndmask_b32_e64 v19, 0, 0xffffffe0, s0
	v_add_nc_u32_e32 v6, v19, v6
	v_mov_b32_e32 v10, v15
	v_cndmask_b32_e32 v12, v14, v12, vcc_lo
	v_cmp_lt_u32_e64 s1, 31, v6
	v_mad_u64_u32 v[15:16], null, 0xfc2757d1, v18, v[10:11]
	v_cndmask_b32_e64 v5, v12, v5, s0
	v_mov_b32_e32 v10, v16
	v_mad_u64_u32 v[16:17], null, 0x4e441529, v18, v[10:11]
	v_mov_b32_e32 v10, v17
	v_cndmask_b32_e64 v17, 0, 0xffffffe0, s1
	v_mad_u64_u32 v[10:11], null, 0xa2f9836e, v18, v[10:11]
	v_cndmask_b32_e32 v18, v16, v14, vcc_lo
	v_add_nc_u32_e32 v6, v17, v6
	v_cndmask_b32_e32 v10, v10, v15, vcc_lo
	v_cndmask_b32_e32 v11, v11, v16, vcc_lo
	;; [unrolled: 1-line block ×3, first 2 shown]
	v_sub_nc_u32_e32 v16, 32, v6
	v_cmp_eq_u32_e32 vcc_lo, 0, v6
	v_cndmask_b32_e64 v14, v10, v18, s0
	v_cndmask_b32_e64 v10, v11, v10, s0
	v_cndmask_b32_e64 v11, v18, v15, s0
	v_cndmask_b32_e64 v15, v15, v12, s0
	v_cndmask_b32_e64 v10, v10, v14, s1
	v_cndmask_b32_e64 v14, v14, v11, s1
	v_cndmask_b32_e64 v11, v11, v15, s1
	v_cndmask_b32_e64 v5, v15, v5, s1
	v_alignbit_b32 v17, v10, v14, v16
	v_alignbit_b32 v13, v14, v11, v16
	;; [unrolled: 1-line block ×3, first 2 shown]
	v_cndmask_b32_e32 v6, v17, v10, vcc_lo
	v_cndmask_b32_e32 v10, v13, v14, vcc_lo
	;; [unrolled: 1-line block ×3, first 2 shown]
	v_bfe_u32 v12, v6, 29, 1
	v_alignbit_b32 v13, v6, v10, 30
	v_alignbit_b32 v10, v10, v11, 30
	;; [unrolled: 1-line block ×3, first 2 shown]
	v_sub_nc_u32_e32 v14, 0, v12
	v_xor_b32_e32 v13, v13, v14
	v_xor_b32_e32 v10, v10, v14
	;; [unrolled: 1-line block ×3, first 2 shown]
	v_lshrrev_b32_e32 v14, 29, v6
	v_lshrrev_b32_e32 v6, 30, v6
	v_ffbh_u32_e32 v15, v13
	v_add_nc_u32_e32 v6, v12, v6
	v_min_u32_e32 v15, 32, v15
	v_sub_nc_u32_e32 v11, 31, v15
	v_lshlrev_b32_e32 v16, 23, v15
	v_alignbit_b32 v13, v13, v10, v11
	v_alignbit_b32 v5, v10, v5, v11
	v_lshlrev_b32_e32 v10, 31, v14
	v_alignbit_b32 v11, v13, v5, 9
	v_or_b32_e32 v14, 0.5, v10
	v_lshrrev_b32_e32 v13, 9, v13
	v_or_b32_e32 v10, 0x33000000, v10
	v_ffbh_u32_e32 v17, v11
	v_sub_nc_u32_e32 v14, v14, v16
	v_min_u32_e32 v16, 32, v17
	v_or_b32_e32 v13, v13, v14
	v_not_b32_e32 v14, v16
	v_mul_f32_e32 v17, 0x3fc90fda, v13
	v_add_lshl_u32 v15, v16, v15, 23
	v_alignbit_b32 v5, v11, v5, v14
	v_fma_f32 v11, 0x3fc90fda, v13, -v17
	v_sub_nc_u32_e32 v10, v10, v15
	v_lshrrev_b32_e32 v5, 9, v5
	v_fmamk_f32 v11, v13, 0x33a22168, v11
	v_or_b32_e32 v5, v10, v5
	v_fmac_f32_e32 v11, 0x3fc90fda, v5
	v_add_f32_e32 v5, v17, v11
.LBB10_25:
	s_andn2_saveexec_b32 s0, s12
; %bb.26:
	v_mul_f32_e64 v5, 0x3f22f983, |v7|
	v_rndne_f32_e32 v6, v5
	v_fma_f32 v5, 0xbfc90fda, v6, |v7|
	v_fmamk_f32 v5, v6, 0xb3a22168, v5
	v_fmamk_f32 v5, v6, 0xa7c234c4, v5
	v_cvt_i32_f32_e32 v6, v6
; %bb.27:
	s_or_b32 exec_lo, exec_lo, s0
	v_mul_f32_e32 v10, v5, v5
	s_mov_b32 s0, 0xb94c1982
	s_mov_b32 s1, 0x37d75334
	v_and_b32_e32 v13, 1, v6
	v_lshlrev_b32_e32 v6, 30, v6
	v_fmaak_f32 v11, s0, v10, 0x3c0881c4
	v_fmaak_f32 v12, s1, v10, 0xbab64f3b
	v_xor_b32_e32 v3, v3, v7
	v_cmp_eq_u32_e32 vcc_lo, 0, v13
	v_and_b32_e32 v6, 0x80000000, v6
	v_fmaak_f32 v11, v10, v11, 0xbe2aaa9d
	v_fmaak_f32 v12, v10, v12, 0x3d2aabf7
	v_mul_f32_e32 v11, v10, v11
	v_fmaak_f32 v12, v10, v12, 0xbf000004
	v_fmac_f32_e32 v5, v5, v11
	v_fma_f32 v10, v10, v12, 1.0
	v_cndmask_b32_e32 v5, v10, v5, vcc_lo
	v_cmp_class_f32_e64 vcc_lo, v7, 0x1f8
	v_xor3_b32 v3, v3, v6, v5
	v_cndmask_b32_e32 v3, 0x7fc00000, v3, vcc_lo
	v_div_scale_f32 v5, null, v7, v7, v3
	v_rcp_f32_e32 v6, v5
	v_fma_f32 v10, -v5, v6, 1.0
	v_fmac_f32_e32 v6, v10, v6
	v_div_scale_f32 v10, vcc_lo, v3, v7, v3
	v_mul_f32_e32 v11, v10, v6
	v_fma_f32 v12, -v5, v11, v10
	v_fmac_f32_e32 v11, v12, v6
	v_fma_f32 v5, -v5, v11, v10
	v_div_fmas_f32 v5, v5, v6, v11
	v_div_fixup_f32 v3, v5, v7, v3
.LBB10_28:
	s_andn2_saveexec_b32 s0, s7
	s_cbranch_execz .LBB10_30
; %bb.29:
	v_mul_f32_e32 v3, v7, v7
	s_mov_b32 s1, 0x2f309231
	v_fmaak_f32 v5, s1, v3, 0xb2d7322b
	v_fmaak_f32 v5, v3, v5, 0x3638ef1d
	;; [unrolled: 1-line block ×5, first 2 shown]
	v_fma_f32 v3, v3, v5, 1.0
.LBB10_30:
	s_or_b32 exec_lo, exec_lo, s0
.LBB10_31:
	s_or_b32 exec_lo, exec_lo, s5
	s_mov_b32 s5, exec_lo
	v_cmpx_neq_f32_e64 0x7f800000, |v8|
	s_cbranch_execz .LBB10_41
; %bb.32:
	s_mov_b32 s1, exec_lo
	v_cmpx_nlt_f32_e64 |v8|, 0.5
	s_xor_b32 s7, exec_lo, s1
	s_cbranch_execz .LBB10_38
; %bb.33:
	v_and_b32_e32 v4, 0x7fffffff, v8
                                        ; implicit-def: $vgpr6
                                        ; implicit-def: $vgpr5
	s_mov_b32 s1, exec_lo
	v_cmpx_ngt_f32_e64 0x48000000, |v8|
	s_xor_b32 s12, exec_lo, s1
	s_cbranch_execz .LBB10_35
; %bb.34:
	s_mov_b32 s0, 0x7fffff
	v_mov_b32_e32 v7, 0
	v_and_or_b32 v16, v4, s0, 0x800000
	v_lshrrev_b32_e32 v14, 23, v4
	v_mad_u64_u32 v[5:6], null, 0xfe5163ab, v16, 0
	v_add_nc_u32_e32 v15, 0xffffff88, v14
	v_cmp_lt_u32_e32 vcc_lo, 63, v15
	v_mad_u64_u32 v[10:11], null, 0x3c439041, v16, v[6:7]
	v_cndmask_b32_e64 v17, 0, 0xffffffc0, vcc_lo
	v_mov_b32_e32 v6, v11
	v_add_nc_u32_e32 v17, v17, v15
	v_mad_u64_u32 v[11:12], null, 0xdb629599, v16, v[6:7]
	v_cmp_lt_u32_e64 s0, 31, v17
	v_cndmask_b32_e64 v18, 0, 0xffffffe0, s0
	v_mov_b32_e32 v6, v12
	v_cndmask_b32_e32 v5, v11, v5, vcc_lo
	v_mad_u64_u32 v[12:13], null, 0xf534ddc0, v16, v[6:7]
	v_mov_b32_e32 v6, v13
	v_cndmask_b32_e32 v10, v12, v10, vcc_lo
	v_mad_u64_u32 v[13:14], null, 0xfc2757d1, v16, v[6:7]
	v_cndmask_b32_e64 v5, v10, v5, s0
	v_mov_b32_e32 v6, v14
	v_mad_u64_u32 v[14:15], null, 0x4e441529, v16, v[6:7]
	v_mov_b32_e32 v6, v15
	v_add_nc_u32_e32 v15, v18, v17
	v_cndmask_b32_e32 v17, v14, v12, vcc_lo
	v_mad_u64_u32 v[6:7], null, 0xa2f9836e, v16, v[6:7]
	v_cmp_lt_u32_e64 s1, 31, v15
	v_cndmask_b32_e64 v16, 0, 0xffffffe0, s1
	v_cndmask_b32_e32 v6, v6, v13, vcc_lo
	v_cndmask_b32_e32 v7, v7, v14, vcc_lo
	;; [unrolled: 1-line block ×3, first 2 shown]
	v_add_nc_u32_e32 v14, v16, v15
	v_cndmask_b32_e64 v12, v6, v17, s0
	v_cndmask_b32_e64 v6, v7, v6, s0
	;; [unrolled: 1-line block ×4, first 2 shown]
	v_sub_nc_u32_e32 v15, 32, v14
	v_cmp_eq_u32_e32 vcc_lo, 0, v14
	v_cndmask_b32_e64 v6, v6, v12, s1
	v_cndmask_b32_e64 v12, v12, v7, s1
	;; [unrolled: 1-line block ×4, first 2 shown]
	v_alignbit_b32 v16, v6, v12, v15
	v_alignbit_b32 v11, v12, v7, v15
	;; [unrolled: 1-line block ×3, first 2 shown]
	v_cndmask_b32_e32 v6, v16, v6, vcc_lo
	v_cndmask_b32_e32 v10, v11, v12, vcc_lo
	;; [unrolled: 1-line block ×3, first 2 shown]
	v_bfe_u32 v11, v6, 29, 1
	v_alignbit_b32 v12, v6, v10, 30
	v_alignbit_b32 v10, v10, v7, 30
	;; [unrolled: 1-line block ×3, first 2 shown]
	v_sub_nc_u32_e32 v13, 0, v11
	v_xor_b32_e32 v12, v12, v13
	v_xor_b32_e32 v7, v10, v13
	;; [unrolled: 1-line block ×3, first 2 shown]
	v_lshrrev_b32_e32 v13, 29, v6
	v_lshrrev_b32_e32 v6, 30, v6
	v_ffbh_u32_e32 v14, v12
	v_add_nc_u32_e32 v6, v11, v6
	v_min_u32_e32 v14, 32, v14
	v_sub_nc_u32_e32 v10, 31, v14
	v_lshlrev_b32_e32 v15, 23, v14
	v_alignbit_b32 v12, v12, v7, v10
	v_alignbit_b32 v5, v7, v5, v10
	v_lshlrev_b32_e32 v7, 31, v13
	v_alignbit_b32 v10, v12, v5, 9
	v_or_b32_e32 v13, 0.5, v7
	v_lshrrev_b32_e32 v12, 9, v12
	v_or_b32_e32 v7, 0x33000000, v7
	v_ffbh_u32_e32 v16, v10
	v_sub_nc_u32_e32 v13, v13, v15
	v_min_u32_e32 v15, 32, v16
	v_or_b32_e32 v12, v12, v13
	v_not_b32_e32 v13, v15
	v_mul_f32_e32 v16, 0x3fc90fda, v12
	v_add_lshl_u32 v14, v15, v14, 23
	v_alignbit_b32 v5, v10, v5, v13
	v_fma_f32 v10, 0x3fc90fda, v12, -v16
	v_sub_nc_u32_e32 v7, v7, v14
	v_lshrrev_b32_e32 v5, 9, v5
	v_fmamk_f32 v10, v12, 0x33a22168, v10
	v_or_b32_e32 v5, v7, v5
	v_fmac_f32_e32 v10, 0x3fc90fda, v5
	v_add_f32_e32 v5, v16, v10
.LBB10_35:
	s_andn2_saveexec_b32 s0, s12
; %bb.36:
	v_mul_f32_e64 v5, 0x3f22f983, |v8|
	v_rndne_f32_e32 v6, v5
	v_fma_f32 v5, 0xbfc90fda, v6, |v8|
	v_fmamk_f32 v5, v6, 0xb3a22168, v5
	v_fmamk_f32 v5, v6, 0xa7c234c4, v5
	v_cvt_i32_f32_e32 v6, v6
; %bb.37:
	s_or_b32 exec_lo, exec_lo, s0
	v_mul_f32_e32 v7, v5, v5
	s_mov_b32 s0, 0xb94c1982
	s_mov_b32 s1, 0x37d75334
	v_and_b32_e32 v12, 1, v6
	v_lshlrev_b32_e32 v6, 30, v6
	v_fmaak_f32 v10, s0, v7, 0x3c0881c4
	v_fmaak_f32 v11, s1, v7, 0xbab64f3b
	v_xor_b32_e32 v4, v4, v8
	v_cmp_eq_u32_e32 vcc_lo, 0, v12
	v_and_b32_e32 v6, 0x80000000, v6
	v_fmaak_f32 v10, v7, v10, 0xbe2aaa9d
	v_fmaak_f32 v11, v7, v11, 0x3d2aabf7
	v_mul_f32_e32 v10, v7, v10
	v_fmaak_f32 v11, v7, v11, 0xbf000004
	v_fmac_f32_e32 v5, v5, v10
	v_fma_f32 v7, v7, v11, 1.0
	v_cndmask_b32_e32 v5, v7, v5, vcc_lo
	v_cmp_class_f32_e64 vcc_lo, v8, 0x1f8
	v_xor3_b32 v4, v4, v6, v5
	v_cndmask_b32_e32 v4, 0x7fc00000, v4, vcc_lo
	v_div_scale_f32 v5, null, v8, v8, v4
	v_rcp_f32_e32 v6, v5
	v_fma_f32 v7, -v5, v6, 1.0
	v_fmac_f32_e32 v6, v7, v6
	v_div_scale_f32 v7, vcc_lo, v4, v8, v4
	v_mul_f32_e32 v10, v7, v6
	v_fma_f32 v11, -v5, v10, v7
	v_fmac_f32_e32 v10, v11, v6
	v_fma_f32 v5, -v5, v10, v7
	v_div_fmas_f32 v5, v5, v6, v10
	v_div_fixup_f32 v4, v5, v8, v4
                                        ; implicit-def: $vgpr5_vgpr6_vgpr7_vgpr8
.LBB10_38:
	s_andn2_saveexec_b32 s0, s7
	s_cbranch_execz .LBB10_40
; %bb.39:
	v_mul_f32_e32 v4, v8, v8
	s_mov_b32 s1, 0x2f309231
	v_fmaak_f32 v5, s1, v4, 0xb2d7322b
	v_fmaak_f32 v5, v4, v5, 0x3638ef1d
	v_fmaak_f32 v5, v4, v5, 0xb9500d01
	v_fmaak_f32 v5, v4, v5, 0x3c088889
	v_fmaak_f32 v5, v4, v5, 0xbe2aaaab
	v_fma_f32 v4, v4, v5, 1.0
.LBB10_40:
	s_or_b32 exec_lo, exec_lo, s0
.LBB10_41:
	s_or_b32 exec_lo, exec_lo, s5
	s_add_u32 s2, s8, s2
	s_addc_u32 s3, s9, s3
	s_mov_b32 s0, 0
	global_store_dwordx4 v9, v[1:4], s[2:3]
.LBB10_42:
	s_and_b32 vcc_lo, exec_lo, s0
	s_cbranch_vccz .LBB10_93
; %bb.43:
	v_cmp_gt_i32_e64 s0, s6, v0
	v_mov_b32_e32 v10, 0
	v_or_b32_e32 v6, s4, v0
	v_or_b32_e32 v8, 0x100, v0
	v_mov_b32_e32 v5, 0
	v_mov_b32_e32 v1, v0
	s_and_saveexec_b32 s1, s0
	s_cbranch_execz .LBB10_45
; %bb.44:
	v_mov_b32_e32 v7, 0
	v_lshlrev_b64 v[1:2], 2, v[6:7]
	v_add_co_u32 v1, vcc_lo, s10, v1
	v_add_co_ci_u32_e64 v2, null, s11, v2, vcc_lo
	global_load_dword v5, v[1:2], off
	v_or_b32_e32 v1, 0x100, v0
.LBB10_45:
	s_or_b32 exec_lo, exec_lo, s1
	s_mov_b32 s1, exec_lo
	v_cmpx_gt_i32_e64 s6, v1
	s_cbranch_execz .LBB10_47
; %bb.46:
	v_add_nc_u32_e32 v2, s4, v1
	v_mov_b32_e32 v3, 0
	v_add_nc_u32_e32 v1, 0x100, v1
	v_lshlrev_b64 v[2:3], 2, v[2:3]
	v_add_co_u32 v2, vcc_lo, s10, v2
	v_add_co_ci_u32_e64 v3, null, s11, v3, vcc_lo
	global_load_dword v10, v[2:3], off
.LBB10_47:
	s_or_b32 exec_lo, exec_lo, s1
	v_mov_b32_e32 v7, 0
	v_mov_b32_e32 v9, 0
	s_mov_b32 s1, exec_lo
	v_cmpx_gt_i32_e64 s6, v1
	s_cbranch_execz .LBB10_49
; %bb.48:
	v_add_nc_u32_e32 v2, s4, v1
	v_mov_b32_e32 v3, 0
	v_add_nc_u32_e32 v1, 0x100, v1
	v_lshlrev_b64 v[2:3], 2, v[2:3]
	v_add_co_u32 v2, vcc_lo, s10, v2
	v_add_co_ci_u32_e64 v3, null, s11, v3, vcc_lo
	global_load_dword v9, v[2:3], off
.LBB10_49:
	s_or_b32 exec_lo, exec_lo, s1
	s_mov_b32 s1, exec_lo
	v_cmpx_gt_i32_e64 s6, v1
	s_cbranch_execz .LBB10_51
; %bb.50:
	v_add_nc_u32_e32 v1, s4, v1
	v_mov_b32_e32 v2, 0
	v_lshlrev_b64 v[1:2], 2, v[1:2]
	v_add_co_u32 v1, vcc_lo, s10, v1
	v_add_co_ci_u32_e64 v2, null, s11, v2, vcc_lo
	global_load_dword v7, v[1:2], off
.LBB10_51:
	s_or_b32 exec_lo, exec_lo, s1
	v_mov_b32_e32 v1, 0
	v_mov_b32_e32 v2, v1
	;; [unrolled: 1-line block ×4, first 2 shown]
	s_and_saveexec_b32 s3, s0
	s_cbranch_execz .LBB10_63
; %bb.52:
	v_mov_b32_e32 v2, 0
	s_mov_b32 s5, exec_lo
	s_waitcnt vmcnt(0)
	v_cmpx_neq_f32_e64 0x7f800000, |v5|
	s_cbranch_execz .LBB10_62
; %bb.53:
                                        ; implicit-def: $vgpr2
	s_mov_b32 s2, exec_lo
	v_cmpx_nlt_f32_e64 |v5|, 0.5
	s_xor_b32 s7, exec_lo, s2
	s_cbranch_execz .LBB10_59
; %bb.54:
	v_and_b32_e32 v2, 0x7fffffff, v5
                                        ; implicit-def: $vgpr4
                                        ; implicit-def: $vgpr3
	s_mov_b32 s2, exec_lo
	v_cmpx_ngt_f32_e64 0x48000000, |v5|
	s_xor_b32 s10, exec_lo, s2
	s_cbranch_execz .LBB10_56
; %bb.55:
	s_mov_b32 s1, 0x7fffff
	v_mov_b32_e32 v12, 0
	v_and_or_b32 v19, v2, s1, 0x800000
	v_mad_u64_u32 v[3:4], null, 0xfe5163ab, v19, 0
	v_mov_b32_e32 v11, v4
	v_lshrrev_b32_e32 v4, 23, v2
	v_mad_u64_u32 v[13:14], null, 0x3c439041, v19, v[11:12]
	v_add_nc_u32_e32 v4, 0xffffff88, v4
	v_cmp_lt_u32_e32 vcc_lo, 63, v4
	v_mov_b32_e32 v11, v14
	v_cndmask_b32_e64 v18, 0, 0xffffffc0, vcc_lo
	v_mad_u64_u32 v[14:15], null, 0xdb629599, v19, v[11:12]
	v_add_nc_u32_e32 v4, v18, v4
	v_mov_b32_e32 v11, v15
	v_cmp_lt_u32_e64 s1, 31, v4
	v_cndmask_b32_e32 v3, v14, v3, vcc_lo
	v_mad_u64_u32 v[15:16], null, 0xf534ddc0, v19, v[11:12]
	v_cndmask_b32_e64 v20, 0, 0xffffffe0, s1
	v_add_nc_u32_e32 v4, v20, v4
	v_mov_b32_e32 v11, v16
	v_cndmask_b32_e32 v13, v15, v13, vcc_lo
	v_cmp_lt_u32_e64 s2, 31, v4
	v_mad_u64_u32 v[16:17], null, 0xfc2757d1, v19, v[11:12]
	v_cndmask_b32_e64 v3, v13, v3, s1
	v_mov_b32_e32 v11, v17
	v_mad_u64_u32 v[17:18], null, 0x4e441529, v19, v[11:12]
	v_mov_b32_e32 v11, v18
	v_cndmask_b32_e64 v18, 0, 0xffffffe0, s2
	v_mad_u64_u32 v[11:12], null, 0xa2f9836e, v19, v[11:12]
	v_cndmask_b32_e32 v19, v17, v15, vcc_lo
	v_add_nc_u32_e32 v4, v18, v4
	v_cndmask_b32_e32 v11, v11, v16, vcc_lo
	v_cndmask_b32_e32 v12, v12, v17, vcc_lo
	;; [unrolled: 1-line block ×3, first 2 shown]
	v_sub_nc_u32_e32 v17, 32, v4
	v_cmp_eq_u32_e32 vcc_lo, 0, v4
	v_cndmask_b32_e64 v15, v11, v19, s1
	v_cndmask_b32_e64 v11, v12, v11, s1
	;; [unrolled: 1-line block ×8, first 2 shown]
	v_alignbit_b32 v18, v11, v15, v17
	v_alignbit_b32 v14, v15, v12, v17
	;; [unrolled: 1-line block ×3, first 2 shown]
	v_cndmask_b32_e32 v4, v18, v11, vcc_lo
	v_cndmask_b32_e32 v11, v14, v15, vcc_lo
	;; [unrolled: 1-line block ×3, first 2 shown]
	v_bfe_u32 v13, v4, 29, 1
	v_alignbit_b32 v14, v4, v11, 30
	v_alignbit_b32 v11, v11, v12, 30
	;; [unrolled: 1-line block ×3, first 2 shown]
	v_sub_nc_u32_e32 v15, 0, v13
	v_xor_b32_e32 v14, v14, v15
	v_xor_b32_e32 v11, v11, v15
	;; [unrolled: 1-line block ×3, first 2 shown]
	v_lshrrev_b32_e32 v15, 29, v4
	v_lshrrev_b32_e32 v4, 30, v4
	v_ffbh_u32_e32 v16, v14
	v_add_nc_u32_e32 v4, v13, v4
	v_min_u32_e32 v16, 32, v16
	v_sub_nc_u32_e32 v12, 31, v16
	v_lshlrev_b32_e32 v17, 23, v16
	v_alignbit_b32 v14, v14, v11, v12
	v_alignbit_b32 v3, v11, v3, v12
	v_lshlrev_b32_e32 v11, 31, v15
	v_alignbit_b32 v12, v14, v3, 9
	v_or_b32_e32 v15, 0.5, v11
	v_lshrrev_b32_e32 v14, 9, v14
	v_or_b32_e32 v11, 0x33000000, v11
	v_ffbh_u32_e32 v18, v12
	v_sub_nc_u32_e32 v15, v15, v17
	v_min_u32_e32 v17, 32, v18
	v_or_b32_e32 v14, v14, v15
	v_not_b32_e32 v15, v17
	v_mul_f32_e32 v18, 0x3fc90fda, v14
	v_add_lshl_u32 v16, v17, v16, 23
	v_alignbit_b32 v3, v12, v3, v15
	v_fma_f32 v12, 0x3fc90fda, v14, -v18
	v_sub_nc_u32_e32 v11, v11, v16
	v_lshrrev_b32_e32 v3, 9, v3
	v_fmamk_f32 v12, v14, 0x33a22168, v12
	v_or_b32_e32 v3, v11, v3
	v_fmac_f32_e32 v12, 0x3fc90fda, v3
	v_add_f32_e32 v3, v18, v12
.LBB10_56:
	s_andn2_saveexec_b32 s1, s10
; %bb.57:
	v_mul_f32_e64 v3, 0x3f22f983, |v5|
	v_rndne_f32_e32 v4, v3
	v_fma_f32 v3, 0xbfc90fda, v4, |v5|
	v_fmamk_f32 v3, v4, 0xb3a22168, v3
	v_fmamk_f32 v3, v4, 0xa7c234c4, v3
	v_cvt_i32_f32_e32 v4, v4
; %bb.58:
	s_or_b32 exec_lo, exec_lo, s1
	v_mul_f32_e32 v11, v3, v3
	s_mov_b32 s1, 0xb94c1982
	s_mov_b32 s2, 0x37d75334
	v_and_b32_e32 v14, 1, v4
	v_lshlrev_b32_e32 v4, 30, v4
	v_fmaak_f32 v12, s1, v11, 0x3c0881c4
	v_fmaak_f32 v13, s2, v11, 0xbab64f3b
	v_xor_b32_e32 v2, v2, v5
	v_cmp_eq_u32_e32 vcc_lo, 0, v14
	v_and_b32_e32 v4, 0x80000000, v4
	v_fmaak_f32 v12, v11, v12, 0xbe2aaa9d
	v_fmaak_f32 v13, v11, v13, 0x3d2aabf7
	v_mul_f32_e32 v12, v11, v12
	v_fmaak_f32 v13, v11, v13, 0xbf000004
	v_fmac_f32_e32 v3, v3, v12
	v_fma_f32 v11, v11, v13, 1.0
	v_cndmask_b32_e32 v3, v11, v3, vcc_lo
	v_cmp_class_f32_e64 vcc_lo, v5, 0x1f8
	v_xor3_b32 v2, v2, v4, v3
	v_cndmask_b32_e32 v2, 0x7fc00000, v2, vcc_lo
	v_div_scale_f32 v3, null, v5, v5, v2
	v_rcp_f32_e32 v4, v3
	v_fma_f32 v11, -v3, v4, 1.0
	v_fmac_f32_e32 v4, v11, v4
	v_div_scale_f32 v11, vcc_lo, v2, v5, v2
	v_mul_f32_e32 v12, v11, v4
	v_fma_f32 v13, -v3, v12, v11
	v_fmac_f32_e32 v12, v13, v4
	v_fma_f32 v3, -v3, v12, v11
	v_div_fmas_f32 v3, v3, v4, v12
	v_div_fixup_f32 v2, v3, v5, v2
                                        ; implicit-def: $vgpr5
.LBB10_59:
	s_andn2_saveexec_b32 s1, s7
	s_cbranch_execz .LBB10_61
; %bb.60:
	v_mul_f32_e32 v2, v5, v5
	s_mov_b32 s2, 0x2f309231
	v_fmaak_f32 v3, s2, v2, 0xb2d7322b
	v_fmaak_f32 v3, v2, v3, 0x3638ef1d
	;; [unrolled: 1-line block ×5, first 2 shown]
	v_fma_f32 v2, v2, v3, 1.0
.LBB10_61:
	s_or_b32 exec_lo, exec_lo, s1
.LBB10_62:
	s_or_b32 exec_lo, exec_lo, s5
	v_mov_b32_e32 v5, v1
	v_mov_b32_e32 v3, v1
	;; [unrolled: 1-line block ×7, first 2 shown]
.LBB10_63:
	s_or_b32 exec_lo, exec_lo, s3
	s_mov_b32 s3, exec_lo
	v_cmpx_gt_i32_e64 s6, v8
	s_cbranch_execz .LBB10_75
; %bb.64:
	v_mov_b32_e32 v2, 0
	s_mov_b32 s5, exec_lo
	s_waitcnt vmcnt(0)
	v_cmpx_neq_f32_e64 0x7f800000, |v10|
	s_cbranch_execz .LBB10_74
; %bb.65:
	s_mov_b32 s2, exec_lo
	v_cmpx_nlt_f32_e64 |v10|, 0.5
	s_xor_b32 s7, exec_lo, s2
	s_cbranch_execz .LBB10_71
; %bb.66:
	v_and_b32_e32 v2, 0x7fffffff, v10
                                        ; implicit-def: $vgpr11
                                        ; implicit-def: $vgpr5
	s_mov_b32 s2, exec_lo
	v_cmpx_ngt_f32_e64 0x48000000, |v10|
	s_xor_b32 s10, exec_lo, s2
	s_cbranch_execz .LBB10_68
; %bb.67:
	s_mov_b32 s1, 0x7fffff
	v_mov_b32_e32 v13, 0
	v_and_or_b32 v5, v2, s1, 0x800000
	v_lshrrev_b32_e32 v18, 23, v2
	v_mad_u64_u32 v[11:12], null, 0xfe5163ab, v5, 0
	v_add_nc_u32_e32 v19, 0xffffff88, v18
	v_cmp_lt_u32_e32 vcc_lo, 63, v19
	v_mad_u64_u32 v[14:15], null, 0x3c439041, v5, v[12:13]
	v_cndmask_b32_e64 v20, 0, 0xffffffc0, vcc_lo
	v_mov_b32_e32 v12, v15
	v_add_nc_u32_e32 v20, v20, v19
	v_mad_u64_u32 v[15:16], null, 0xdb629599, v5, v[12:13]
	v_cmp_lt_u32_e64 s1, 31, v20
	v_cndmask_b32_e64 v21, 0, 0xffffffe0, s1
	v_mov_b32_e32 v12, v16
	v_cndmask_b32_e32 v11, v15, v11, vcc_lo
	v_mad_u64_u32 v[16:17], null, 0xf534ddc0, v5, v[12:13]
	v_mov_b32_e32 v12, v17
	v_cndmask_b32_e32 v14, v16, v14, vcc_lo
	v_mad_u64_u32 v[17:18], null, 0xfc2757d1, v5, v[12:13]
	v_cndmask_b32_e64 v11, v14, v11, s1
	v_mov_b32_e32 v12, v18
	v_mad_u64_u32 v[18:19], null, 0x4e441529, v5, v[12:13]
	v_mov_b32_e32 v12, v19
	v_add_nc_u32_e32 v19, v21, v20
	v_cndmask_b32_e32 v20, v18, v16, vcc_lo
	v_mad_u64_u32 v[12:13], null, 0xa2f9836e, v5, v[12:13]
	v_cmp_lt_u32_e64 s2, 31, v19
	v_cndmask_b32_e64 v5, 0, 0xffffffe0, s2
	v_cndmask_b32_e32 v12, v12, v17, vcc_lo
	v_cndmask_b32_e32 v13, v13, v18, vcc_lo
	;; [unrolled: 1-line block ×3, first 2 shown]
	v_add_nc_u32_e32 v5, v5, v19
	v_cndmask_b32_e64 v16, v12, v20, s1
	v_cndmask_b32_e64 v12, v13, v12, s1
	;; [unrolled: 1-line block ×4, first 2 shown]
	v_sub_nc_u32_e32 v18, 32, v5
	v_cmp_eq_u32_e32 vcc_lo, 0, v5
	v_cndmask_b32_e64 v12, v12, v16, s2
	v_cndmask_b32_e64 v16, v16, v13, s2
	;; [unrolled: 1-line block ×4, first 2 shown]
	v_alignbit_b32 v19, v12, v16, v18
	v_alignbit_b32 v15, v16, v13, v18
	;; [unrolled: 1-line block ×3, first 2 shown]
	v_cndmask_b32_e32 v5, v19, v12, vcc_lo
	v_cndmask_b32_e32 v12, v15, v16, vcc_lo
	;; [unrolled: 1-line block ×3, first 2 shown]
	v_bfe_u32 v14, v5, 29, 1
	v_alignbit_b32 v15, v5, v12, 30
	v_alignbit_b32 v12, v12, v13, 30
	;; [unrolled: 1-line block ×3, first 2 shown]
	v_sub_nc_u32_e32 v16, 0, v14
	v_xor_b32_e32 v15, v15, v16
	v_xor_b32_e32 v12, v12, v16
	v_xor_b32_e32 v11, v11, v16
	v_lshrrev_b32_e32 v16, 29, v5
	v_ffbh_u32_e32 v17, v15
	v_min_u32_e32 v17, 32, v17
	v_sub_nc_u32_e32 v13, 31, v17
	v_lshlrev_b32_e32 v18, 23, v17
	v_alignbit_b32 v15, v15, v12, v13
	v_alignbit_b32 v11, v12, v11, v13
	v_lshlrev_b32_e32 v12, 31, v16
	v_alignbit_b32 v13, v15, v11, 9
	v_or_b32_e32 v16, 0.5, v12
	v_lshrrev_b32_e32 v15, 9, v15
	v_or_b32_e32 v12, 0x33000000, v12
	v_ffbh_u32_e32 v19, v13
	v_sub_nc_u32_e32 v16, v16, v18
	v_min_u32_e32 v18, 32, v19
	v_or_b32_e32 v15, v15, v16
	v_not_b32_e32 v16, v18
	v_mul_f32_e32 v19, 0x3fc90fda, v15
	v_add_lshl_u32 v17, v18, v17, 23
	v_alignbit_b32 v11, v13, v11, v16
	v_fma_f32 v13, 0x3fc90fda, v15, -v19
	v_sub_nc_u32_e32 v12, v12, v17
	v_lshrrev_b32_e32 v11, 9, v11
	v_fmamk_f32 v13, v15, 0x33a22168, v13
	v_or_b32_e32 v11, v12, v11
	v_fmac_f32_e32 v13, 0x3fc90fda, v11
	v_lshrrev_b32_e32 v11, 30, v5
	v_add_f32_e32 v5, v19, v13
	v_add_nc_u32_e32 v11, v14, v11
.LBB10_68:
	s_andn2_saveexec_b32 s1, s10
; %bb.69:
	v_mul_f32_e64 v5, 0x3f22f983, |v10|
	v_rndne_f32_e32 v11, v5
	v_fma_f32 v5, 0xbfc90fda, v11, |v10|
	v_fmamk_f32 v5, v11, 0xb3a22168, v5
	v_fmamk_f32 v5, v11, 0xa7c234c4, v5
	v_cvt_i32_f32_e32 v11, v11
; %bb.70:
	s_or_b32 exec_lo, exec_lo, s1
	v_mul_f32_e32 v12, v5, v5
	s_mov_b32 s1, 0xb94c1982
	s_mov_b32 s2, 0x37d75334
	v_and_b32_e32 v15, 1, v11
	v_lshlrev_b32_e32 v11, 30, v11
	v_fmaak_f32 v13, s1, v12, 0x3c0881c4
	v_fmaak_f32 v14, s2, v12, 0xbab64f3b
	v_xor_b32_e32 v2, v2, v10
	v_cmp_eq_u32_e32 vcc_lo, 0, v15
	v_and_b32_e32 v11, 0x80000000, v11
	v_fmaak_f32 v13, v12, v13, 0xbe2aaa9d
	v_fmaak_f32 v14, v12, v14, 0x3d2aabf7
	v_mul_f32_e32 v13, v12, v13
	v_fmaak_f32 v14, v12, v14, 0xbf000004
	v_fmac_f32_e32 v5, v5, v13
	v_fma_f32 v12, v12, v14, 1.0
	v_cndmask_b32_e32 v5, v12, v5, vcc_lo
	v_cmp_class_f32_e64 vcc_lo, v10, 0x1f8
	v_xor3_b32 v2, v2, v11, v5
	v_cndmask_b32_e32 v2, 0x7fc00000, v2, vcc_lo
	v_div_scale_f32 v5, null, v10, v10, v2
	v_rcp_f32_e32 v11, v5
	v_fma_f32 v12, -v5, v11, 1.0
	v_fmac_f32_e32 v11, v12, v11
	v_div_scale_f32 v12, vcc_lo, v2, v10, v2
	v_mul_f32_e32 v13, v12, v11
	v_fma_f32 v14, -v5, v13, v12
	v_fmac_f32_e32 v13, v14, v11
	v_fma_f32 v5, -v5, v13, v12
	v_div_fmas_f32 v5, v5, v11, v13
	v_div_fixup_f32 v2, v5, v10, v2
                                        ; implicit-def: $vgpr10
.LBB10_71:
	s_andn2_saveexec_b32 s1, s7
	s_cbranch_execz .LBB10_73
; %bb.72:
	v_mul_f32_e32 v2, v10, v10
	s_mov_b32 s2, 0x2f309231
	v_fmaak_f32 v5, s2, v2, 0xb2d7322b
	v_fmaak_f32 v5, v2, v5, 0x3638ef1d
	;; [unrolled: 1-line block ×5, first 2 shown]
	v_fma_f32 v2, v2, v5, 1.0
.LBB10_73:
	s_or_b32 exec_lo, exec_lo, s1
.LBB10_74:
	s_or_b32 exec_lo, exec_lo, s5
.LBB10_75:
	s_or_b32 exec_lo, exec_lo, s3
	s_waitcnt vmcnt(0)
	v_or_b32_e32 v5, 0x200, v0
	s_mov_b32 s3, exec_lo
	v_cmpx_gt_i32_e64 s6, v5
	s_cbranch_execz .LBB10_87
; %bb.76:
	v_mov_b32_e32 v3, 0
	s_mov_b32 s5, exec_lo
	v_cmpx_neq_f32_e64 0x7f800000, |v9|
	s_cbranch_execz .LBB10_86
; %bb.77:
	s_mov_b32 s2, exec_lo
	v_cmpx_nlt_f32_e64 |v9|, 0.5
	s_xor_b32 s7, exec_lo, s2
	s_cbranch_execz .LBB10_83
; %bb.78:
	v_and_b32_e32 v3, 0x7fffffff, v9
                                        ; implicit-def: $vgpr10
                                        ; implicit-def: $vgpr5
	s_mov_b32 s2, exec_lo
	v_cmpx_ngt_f32_e64 0x48000000, |v9|
	s_xor_b32 s10, exec_lo, s2
	s_cbranch_execz .LBB10_80
; %bb.79:
	s_mov_b32 s1, 0x7fffff
	v_mov_b32_e32 v12, 0
	v_and_or_b32 v5, v3, s1, 0x800000
	v_lshrrev_b32_e32 v17, 23, v3
	v_mad_u64_u32 v[10:11], null, 0xfe5163ab, v5, 0
	v_add_nc_u32_e32 v18, 0xffffff88, v17
	v_cmp_lt_u32_e32 vcc_lo, 63, v18
	v_mad_u64_u32 v[13:14], null, 0x3c439041, v5, v[11:12]
	v_cndmask_b32_e64 v19, 0, 0xffffffc0, vcc_lo
	v_mov_b32_e32 v11, v14
	v_add_nc_u32_e32 v19, v19, v18
	v_mad_u64_u32 v[14:15], null, 0xdb629599, v5, v[11:12]
	v_cmp_lt_u32_e64 s1, 31, v19
	v_cndmask_b32_e64 v20, 0, 0xffffffe0, s1
	v_mov_b32_e32 v11, v15
	v_cndmask_b32_e32 v10, v14, v10, vcc_lo
	v_mad_u64_u32 v[15:16], null, 0xf534ddc0, v5, v[11:12]
	v_mov_b32_e32 v11, v16
	v_cndmask_b32_e32 v13, v15, v13, vcc_lo
	v_mad_u64_u32 v[16:17], null, 0xfc2757d1, v5, v[11:12]
	v_cndmask_b32_e64 v10, v13, v10, s1
	v_mov_b32_e32 v11, v17
	v_mad_u64_u32 v[17:18], null, 0x4e441529, v5, v[11:12]
	v_mov_b32_e32 v11, v18
	v_add_nc_u32_e32 v18, v20, v19
	v_cndmask_b32_e32 v19, v17, v15, vcc_lo
	v_mad_u64_u32 v[11:12], null, 0xa2f9836e, v5, v[11:12]
	v_cmp_lt_u32_e64 s2, 31, v18
	v_cndmask_b32_e64 v5, 0, 0xffffffe0, s2
	v_cndmask_b32_e32 v11, v11, v16, vcc_lo
	v_cndmask_b32_e32 v12, v12, v17, vcc_lo
	;; [unrolled: 1-line block ×3, first 2 shown]
	v_add_nc_u32_e32 v5, v5, v18
	v_cndmask_b32_e64 v15, v11, v19, s1
	v_cndmask_b32_e64 v11, v12, v11, s1
	;; [unrolled: 1-line block ×4, first 2 shown]
	v_sub_nc_u32_e32 v17, 32, v5
	v_cmp_eq_u32_e32 vcc_lo, 0, v5
	v_cndmask_b32_e64 v11, v11, v15, s2
	v_cndmask_b32_e64 v15, v15, v12, s2
	;; [unrolled: 1-line block ×4, first 2 shown]
	v_alignbit_b32 v18, v11, v15, v17
	v_alignbit_b32 v14, v15, v12, v17
	;; [unrolled: 1-line block ×3, first 2 shown]
	v_cndmask_b32_e32 v5, v18, v11, vcc_lo
	v_cndmask_b32_e32 v11, v14, v15, vcc_lo
	;; [unrolled: 1-line block ×3, first 2 shown]
	v_bfe_u32 v13, v5, 29, 1
	v_alignbit_b32 v14, v5, v11, 30
	v_alignbit_b32 v11, v11, v12, 30
	v_alignbit_b32 v10, v12, v10, 30
	v_sub_nc_u32_e32 v15, 0, v13
	v_xor_b32_e32 v14, v14, v15
	v_xor_b32_e32 v11, v11, v15
	;; [unrolled: 1-line block ×3, first 2 shown]
	v_lshrrev_b32_e32 v15, 29, v5
	v_ffbh_u32_e32 v16, v14
	v_min_u32_e32 v16, 32, v16
	v_sub_nc_u32_e32 v12, 31, v16
	v_lshlrev_b32_e32 v17, 23, v16
	v_alignbit_b32 v14, v14, v11, v12
	v_alignbit_b32 v10, v11, v10, v12
	v_lshlrev_b32_e32 v11, 31, v15
	v_alignbit_b32 v12, v14, v10, 9
	v_or_b32_e32 v15, 0.5, v11
	v_lshrrev_b32_e32 v14, 9, v14
	v_or_b32_e32 v11, 0x33000000, v11
	v_ffbh_u32_e32 v18, v12
	v_sub_nc_u32_e32 v15, v15, v17
	v_min_u32_e32 v17, 32, v18
	v_or_b32_e32 v14, v14, v15
	v_not_b32_e32 v15, v17
	v_mul_f32_e32 v18, 0x3fc90fda, v14
	v_add_lshl_u32 v16, v17, v16, 23
	v_alignbit_b32 v10, v12, v10, v15
	v_fma_f32 v12, 0x3fc90fda, v14, -v18
	v_sub_nc_u32_e32 v11, v11, v16
	v_lshrrev_b32_e32 v10, 9, v10
	v_fmamk_f32 v12, v14, 0x33a22168, v12
	v_or_b32_e32 v10, v11, v10
	v_fmac_f32_e32 v12, 0x3fc90fda, v10
	v_lshrrev_b32_e32 v10, 30, v5
	v_add_f32_e32 v5, v18, v12
	v_add_nc_u32_e32 v10, v13, v10
.LBB10_80:
	s_andn2_saveexec_b32 s1, s10
; %bb.81:
	v_mul_f32_e64 v5, 0x3f22f983, |v9|
	v_rndne_f32_e32 v10, v5
	v_fma_f32 v5, 0xbfc90fda, v10, |v9|
	v_fmamk_f32 v5, v10, 0xb3a22168, v5
	v_fmamk_f32 v5, v10, 0xa7c234c4, v5
	v_cvt_i32_f32_e32 v10, v10
; %bb.82:
	s_or_b32 exec_lo, exec_lo, s1
	v_mul_f32_e32 v11, v5, v5
	s_mov_b32 s1, 0xb94c1982
	s_mov_b32 s2, 0x37d75334
	v_and_b32_e32 v14, 1, v10
	v_lshlrev_b32_e32 v10, 30, v10
	v_fmaak_f32 v12, s1, v11, 0x3c0881c4
	v_fmaak_f32 v13, s2, v11, 0xbab64f3b
	v_xor_b32_e32 v3, v3, v9
	v_cmp_eq_u32_e32 vcc_lo, 0, v14
	v_and_b32_e32 v10, 0x80000000, v10
	v_fmaak_f32 v12, v11, v12, 0xbe2aaa9d
	v_fmaak_f32 v13, v11, v13, 0x3d2aabf7
	v_mul_f32_e32 v12, v11, v12
	v_fmaak_f32 v13, v11, v13, 0xbf000004
	v_fmac_f32_e32 v5, v5, v12
	v_fma_f32 v11, v11, v13, 1.0
	v_cndmask_b32_e32 v5, v11, v5, vcc_lo
	v_cmp_class_f32_e64 vcc_lo, v9, 0x1f8
	v_xor3_b32 v3, v3, v10, v5
	v_cndmask_b32_e32 v3, 0x7fc00000, v3, vcc_lo
	v_div_scale_f32 v5, null, v9, v9, v3
	v_rcp_f32_e32 v10, v5
	v_fma_f32 v11, -v5, v10, 1.0
	v_fmac_f32_e32 v10, v11, v10
	v_div_scale_f32 v11, vcc_lo, v3, v9, v3
	v_mul_f32_e32 v12, v11, v10
	v_fma_f32 v13, -v5, v12, v11
	v_fmac_f32_e32 v12, v13, v10
	v_fma_f32 v5, -v5, v12, v11
	v_div_fmas_f32 v5, v5, v10, v12
	v_div_fixup_f32 v3, v5, v9, v3
                                        ; implicit-def: $vgpr9
.LBB10_83:
	s_andn2_saveexec_b32 s1, s7
	s_cbranch_execz .LBB10_85
; %bb.84:
	v_mul_f32_e32 v3, v9, v9
	s_mov_b32 s2, 0x2f309231
	v_fmaak_f32 v5, s2, v3, 0xb2d7322b
	v_fmaak_f32 v5, v3, v5, 0x3638ef1d
	;; [unrolled: 1-line block ×5, first 2 shown]
	v_fma_f32 v3, v3, v5, 1.0
.LBB10_85:
	s_or_b32 exec_lo, exec_lo, s1
.LBB10_86:
	s_or_b32 exec_lo, exec_lo, s5
.LBB10_87:
	s_or_b32 exec_lo, exec_lo, s3
	v_or_b32_e32 v5, 0x300, v0
	s_mov_b32 s3, exec_lo
	v_cmpx_gt_i32_e64 s6, v5
	s_cbranch_execnz .LBB10_94
; %bb.88:
	s_or_b32 exec_lo, exec_lo, s3
	s_and_saveexec_b32 s1, s0
	s_xor_b32 s0, exec_lo, s1
	s_cbranch_execnz .LBB10_105
.LBB10_89:
	s_or_b32 exec_lo, exec_lo, s0
	s_mov_b32 s0, exec_lo
	v_cmpx_gt_i32_e64 s6, v0
	s_cbranch_execnz .LBB10_106
.LBB10_90:
	s_or_b32 exec_lo, exec_lo, s0
	s_mov_b32 s0, exec_lo
	v_cmpx_gt_i32_e64 s6, v0
	s_cbranch_execnz .LBB10_107
.LBB10_91:
	s_or_b32 exec_lo, exec_lo, s0
	s_mov_b32 s0, exec_lo
	v_cmpx_gt_i32_e64 s6, v0
	s_cbranch_execz .LBB10_93
.LBB10_92:
	v_add_nc_u32_e32 v0, s4, v0
	v_mov_b32_e32 v1, 0
	v_lshlrev_b64 v[0:1], 2, v[0:1]
	v_add_co_u32 v0, vcc_lo, s8, v0
	v_add_co_ci_u32_e64 v1, null, s9, v1, vcc_lo
	global_store_dword v[0:1], v4, off
.LBB10_93:
	s_endpgm
.LBB10_94:
	v_mov_b32_e32 v4, 0
	s_mov_b32 s5, exec_lo
	v_cmpx_neq_f32_e64 0x7f800000, |v7|
	s_cbranch_execz .LBB10_104
; %bb.95:
	s_mov_b32 s2, exec_lo
	v_cmpx_nlt_f32_e64 |v7|, 0.5
	s_xor_b32 s7, exec_lo, s2
	s_cbranch_execz .LBB10_101
; %bb.96:
	v_and_b32_e32 v4, 0x7fffffff, v7
                                        ; implicit-def: $vgpr9
                                        ; implicit-def: $vgpr5
	s_mov_b32 s2, exec_lo
	v_cmpx_ngt_f32_e64 0x48000000, |v7|
	s_xor_b32 s10, exec_lo, s2
	s_cbranch_execz .LBB10_98
; %bb.97:
	s_mov_b32 s1, 0x7fffff
	v_mov_b32_e32 v11, 0
	v_and_or_b32 v5, v4, s1, 0x800000
	v_lshrrev_b32_e32 v16, 23, v4
	v_mad_u64_u32 v[9:10], null, 0xfe5163ab, v5, 0
	v_add_nc_u32_e32 v17, 0xffffff88, v16
	v_cmp_lt_u32_e32 vcc_lo, 63, v17
	v_mad_u64_u32 v[12:13], null, 0x3c439041, v5, v[10:11]
	v_cndmask_b32_e64 v18, 0, 0xffffffc0, vcc_lo
	v_mov_b32_e32 v10, v13
	v_add_nc_u32_e32 v18, v18, v17
	v_mad_u64_u32 v[13:14], null, 0xdb629599, v5, v[10:11]
	v_cmp_lt_u32_e64 s1, 31, v18
	v_cndmask_b32_e64 v19, 0, 0xffffffe0, s1
	v_mov_b32_e32 v10, v14
	v_cndmask_b32_e32 v9, v13, v9, vcc_lo
	v_mad_u64_u32 v[14:15], null, 0xf534ddc0, v5, v[10:11]
	v_mov_b32_e32 v10, v15
	v_cndmask_b32_e32 v12, v14, v12, vcc_lo
	v_mad_u64_u32 v[15:16], null, 0xfc2757d1, v5, v[10:11]
	v_cndmask_b32_e64 v9, v12, v9, s1
	v_mov_b32_e32 v10, v16
	v_mad_u64_u32 v[16:17], null, 0x4e441529, v5, v[10:11]
	v_mov_b32_e32 v10, v17
	v_add_nc_u32_e32 v17, v19, v18
	v_cndmask_b32_e32 v18, v16, v14, vcc_lo
	v_mad_u64_u32 v[10:11], null, 0xa2f9836e, v5, v[10:11]
	v_cmp_lt_u32_e64 s2, 31, v17
	v_cndmask_b32_e64 v5, 0, 0xffffffe0, s2
	v_cndmask_b32_e32 v10, v10, v15, vcc_lo
	v_cndmask_b32_e32 v11, v11, v16, vcc_lo
	v_cndmask_b32_e32 v15, v15, v13, vcc_lo
	v_add_nc_u32_e32 v5, v5, v17
	v_cndmask_b32_e64 v14, v10, v18, s1
	v_cndmask_b32_e64 v10, v11, v10, s1
	;; [unrolled: 1-line block ×4, first 2 shown]
	v_sub_nc_u32_e32 v16, 32, v5
	v_cmp_eq_u32_e32 vcc_lo, 0, v5
	v_cndmask_b32_e64 v10, v10, v14, s2
	v_cndmask_b32_e64 v14, v14, v11, s2
	;; [unrolled: 1-line block ×4, first 2 shown]
	v_alignbit_b32 v17, v10, v14, v16
	v_alignbit_b32 v13, v14, v11, v16
	;; [unrolled: 1-line block ×3, first 2 shown]
	v_cndmask_b32_e32 v5, v17, v10, vcc_lo
	v_cndmask_b32_e32 v10, v13, v14, vcc_lo
	v_cndmask_b32_e32 v11, v15, v11, vcc_lo
	v_bfe_u32 v12, v5, 29, 1
	v_alignbit_b32 v13, v5, v10, 30
	v_alignbit_b32 v10, v10, v11, 30
	;; [unrolled: 1-line block ×3, first 2 shown]
	v_sub_nc_u32_e32 v14, 0, v12
	v_xor_b32_e32 v13, v13, v14
	v_xor_b32_e32 v10, v10, v14
	;; [unrolled: 1-line block ×3, first 2 shown]
	v_lshrrev_b32_e32 v14, 29, v5
	v_ffbh_u32_e32 v15, v13
	v_min_u32_e32 v15, 32, v15
	v_sub_nc_u32_e32 v11, 31, v15
	v_lshlrev_b32_e32 v16, 23, v15
	v_alignbit_b32 v13, v13, v10, v11
	v_alignbit_b32 v9, v10, v9, v11
	v_lshlrev_b32_e32 v10, 31, v14
	v_alignbit_b32 v11, v13, v9, 9
	v_or_b32_e32 v14, 0.5, v10
	v_lshrrev_b32_e32 v13, 9, v13
	v_or_b32_e32 v10, 0x33000000, v10
	v_ffbh_u32_e32 v17, v11
	v_sub_nc_u32_e32 v14, v14, v16
	v_min_u32_e32 v16, 32, v17
	v_or_b32_e32 v13, v13, v14
	v_not_b32_e32 v14, v16
	v_mul_f32_e32 v17, 0x3fc90fda, v13
	v_add_lshl_u32 v15, v16, v15, 23
	v_alignbit_b32 v9, v11, v9, v14
	v_fma_f32 v11, 0x3fc90fda, v13, -v17
	v_sub_nc_u32_e32 v10, v10, v15
	v_lshrrev_b32_e32 v9, 9, v9
	v_fmamk_f32 v11, v13, 0x33a22168, v11
	v_or_b32_e32 v9, v10, v9
	v_fmac_f32_e32 v11, 0x3fc90fda, v9
	v_lshrrev_b32_e32 v9, 30, v5
	v_add_f32_e32 v5, v17, v11
	v_add_nc_u32_e32 v9, v12, v9
.LBB10_98:
	s_andn2_saveexec_b32 s1, s10
; %bb.99:
	v_mul_f32_e64 v5, 0x3f22f983, |v7|
	v_rndne_f32_e32 v9, v5
	v_fma_f32 v5, 0xbfc90fda, v9, |v7|
	v_fmamk_f32 v5, v9, 0xb3a22168, v5
	v_fmamk_f32 v5, v9, 0xa7c234c4, v5
	v_cvt_i32_f32_e32 v9, v9
; %bb.100:
	s_or_b32 exec_lo, exec_lo, s1
	v_mul_f32_e32 v10, v5, v5
	s_mov_b32 s1, 0xb94c1982
	s_mov_b32 s2, 0x37d75334
	v_and_b32_e32 v13, 1, v9
	v_lshlrev_b32_e32 v9, 30, v9
	v_fmaak_f32 v11, s1, v10, 0x3c0881c4
	v_fmaak_f32 v12, s2, v10, 0xbab64f3b
	v_xor_b32_e32 v4, v4, v7
	v_cmp_eq_u32_e32 vcc_lo, 0, v13
	v_and_b32_e32 v9, 0x80000000, v9
	v_fmaak_f32 v11, v10, v11, 0xbe2aaa9d
	v_fmaak_f32 v12, v10, v12, 0x3d2aabf7
	v_mul_f32_e32 v11, v10, v11
	v_fmaak_f32 v12, v10, v12, 0xbf000004
	v_fmac_f32_e32 v5, v5, v11
	v_fma_f32 v10, v10, v12, 1.0
	v_cndmask_b32_e32 v5, v10, v5, vcc_lo
	v_cmp_class_f32_e64 vcc_lo, v7, 0x1f8
	v_xor3_b32 v4, v4, v9, v5
	v_cndmask_b32_e32 v4, 0x7fc00000, v4, vcc_lo
	v_div_scale_f32 v5, null, v7, v7, v4
	v_rcp_f32_e32 v9, v5
	v_fma_f32 v10, -v5, v9, 1.0
	v_fmac_f32_e32 v9, v10, v9
	v_div_scale_f32 v10, vcc_lo, v4, v7, v4
	v_mul_f32_e32 v11, v10, v9
	v_fma_f32 v12, -v5, v11, v10
	v_fmac_f32_e32 v11, v12, v9
	v_fma_f32 v5, -v5, v11, v10
	v_div_fmas_f32 v5, v5, v9, v11
	v_div_fixup_f32 v4, v5, v7, v4
                                        ; implicit-def: $vgpr7
.LBB10_101:
	s_andn2_saveexec_b32 s1, s7
	s_cbranch_execz .LBB10_103
; %bb.102:
	v_mul_f32_e32 v4, v7, v7
	s_mov_b32 s2, 0x2f309231
	v_fmaak_f32 v5, s2, v4, 0xb2d7322b
	v_fmaak_f32 v5, v4, v5, 0x3638ef1d
	;; [unrolled: 1-line block ×5, first 2 shown]
	v_fma_f32 v4, v4, v5, 1.0
.LBB10_103:
	s_or_b32 exec_lo, exec_lo, s1
.LBB10_104:
	s_or_b32 exec_lo, exec_lo, s5
	s_or_b32 exec_lo, exec_lo, s3
	s_and_saveexec_b32 s1, s0
	s_xor_b32 s0, exec_lo, s1
	s_cbranch_execz .LBB10_89
.LBB10_105:
	v_mov_b32_e32 v7, 0
	v_mov_b32_e32 v0, v8
	v_lshlrev_b64 v[5:6], 2, v[6:7]
	v_add_co_u32 v5, vcc_lo, s8, v5
	v_add_co_ci_u32_e64 v6, null, s9, v6, vcc_lo
	global_store_dword v[5:6], v1, off
	s_or_b32 exec_lo, exec_lo, s0
	s_mov_b32 s0, exec_lo
	v_cmpx_gt_i32_e64 s6, v0
	s_cbranch_execz .LBB10_90
.LBB10_106:
	v_add_nc_u32_e32 v5, s4, v0
	v_mov_b32_e32 v6, 0
	v_add_nc_u32_e32 v0, 0x100, v0
	v_lshlrev_b64 v[5:6], 2, v[5:6]
	v_add_co_u32 v5, vcc_lo, s8, v5
	v_add_co_ci_u32_e64 v6, null, s9, v6, vcc_lo
	global_store_dword v[5:6], v2, off
	s_or_b32 exec_lo, exec_lo, s0
	s_mov_b32 s0, exec_lo
	v_cmpx_gt_i32_e64 s6, v0
	s_cbranch_execz .LBB10_91
.LBB10_107:
	v_add_nc_u32_e32 v1, s4, v0
	v_mov_b32_e32 v2, 0
	v_add_nc_u32_e32 v0, 0x100, v0
	v_lshlrev_b64 v[1:2], 2, v[1:2]
	v_add_co_u32 v1, vcc_lo, s8, v1
	v_add_co_ci_u32_e64 v2, null, s9, v2, vcc_lo
	global_store_dword v[1:2], v3, off
	s_or_b32 exec_lo, exec_lo, s0
	s_mov_b32 s0, exec_lo
	v_cmpx_gt_i32_e64 s6, v0
	s_cbranch_execnz .LBB10_92
	s_branch .LBB10_93
	.section	.rodata,"a",@progbits
	.p2align	6, 0x0
	.amdhsa_kernel _ZN2at6native29vectorized_elementwise_kernelILi4EZZZNS0_12_GLOBAL__N_131spherical_bessel_j0_kernel_cudaERNS_18TensorIteratorBaseEENKUlvE_clEvENKUlvE0_clEvEUlfE_St5arrayIPcLm2EEEEviT0_T1_
		.amdhsa_group_segment_fixed_size 0
		.amdhsa_private_segment_fixed_size 0
		.amdhsa_kernarg_size 24
		.amdhsa_user_sgpr_count 6
		.amdhsa_user_sgpr_private_segment_buffer 1
		.amdhsa_user_sgpr_dispatch_ptr 0
		.amdhsa_user_sgpr_queue_ptr 0
		.amdhsa_user_sgpr_kernarg_segment_ptr 1
		.amdhsa_user_sgpr_dispatch_id 0
		.amdhsa_user_sgpr_flat_scratch_init 0
		.amdhsa_user_sgpr_private_segment_size 0
		.amdhsa_wavefront_size32 1
		.amdhsa_uses_dynamic_stack 0
		.amdhsa_system_sgpr_private_segment_wavefront_offset 0
		.amdhsa_system_sgpr_workgroup_id_x 1
		.amdhsa_system_sgpr_workgroup_id_y 0
		.amdhsa_system_sgpr_workgroup_id_z 0
		.amdhsa_system_sgpr_workgroup_info 0
		.amdhsa_system_vgpr_workitem_id 0
		.amdhsa_next_free_vgpr 22
		.amdhsa_next_free_sgpr 13
		.amdhsa_reserve_vcc 1
		.amdhsa_reserve_flat_scratch 0
		.amdhsa_float_round_mode_32 0
		.amdhsa_float_round_mode_16_64 0
		.amdhsa_float_denorm_mode_32 3
		.amdhsa_float_denorm_mode_16_64 3
		.amdhsa_dx10_clamp 1
		.amdhsa_ieee_mode 1
		.amdhsa_fp16_overflow 0
		.amdhsa_workgroup_processor_mode 1
		.amdhsa_memory_ordered 1
		.amdhsa_forward_progress 1
		.amdhsa_shared_vgpr_count 0
		.amdhsa_exception_fp_ieee_invalid_op 0
		.amdhsa_exception_fp_denorm_src 0
		.amdhsa_exception_fp_ieee_div_zero 0
		.amdhsa_exception_fp_ieee_overflow 0
		.amdhsa_exception_fp_ieee_underflow 0
		.amdhsa_exception_fp_ieee_inexact 0
		.amdhsa_exception_int_div_zero 0
	.end_amdhsa_kernel
	.section	.text._ZN2at6native29vectorized_elementwise_kernelILi4EZZZNS0_12_GLOBAL__N_131spherical_bessel_j0_kernel_cudaERNS_18TensorIteratorBaseEENKUlvE_clEvENKUlvE0_clEvEUlfE_St5arrayIPcLm2EEEEviT0_T1_,"axG",@progbits,_ZN2at6native29vectorized_elementwise_kernelILi4EZZZNS0_12_GLOBAL__N_131spherical_bessel_j0_kernel_cudaERNS_18TensorIteratorBaseEENKUlvE_clEvENKUlvE0_clEvEUlfE_St5arrayIPcLm2EEEEviT0_T1_,comdat
.Lfunc_end10:
	.size	_ZN2at6native29vectorized_elementwise_kernelILi4EZZZNS0_12_GLOBAL__N_131spherical_bessel_j0_kernel_cudaERNS_18TensorIteratorBaseEENKUlvE_clEvENKUlvE0_clEvEUlfE_St5arrayIPcLm2EEEEviT0_T1_, .Lfunc_end10-_ZN2at6native29vectorized_elementwise_kernelILi4EZZZNS0_12_GLOBAL__N_131spherical_bessel_j0_kernel_cudaERNS_18TensorIteratorBaseEENKUlvE_clEvENKUlvE0_clEvEUlfE_St5arrayIPcLm2EEEEviT0_T1_
                                        ; -- End function
	.set _ZN2at6native29vectorized_elementwise_kernelILi4EZZZNS0_12_GLOBAL__N_131spherical_bessel_j0_kernel_cudaERNS_18TensorIteratorBaseEENKUlvE_clEvENKUlvE0_clEvEUlfE_St5arrayIPcLm2EEEEviT0_T1_.num_vgpr, 22
	.set _ZN2at6native29vectorized_elementwise_kernelILi4EZZZNS0_12_GLOBAL__N_131spherical_bessel_j0_kernel_cudaERNS_18TensorIteratorBaseEENKUlvE_clEvENKUlvE0_clEvEUlfE_St5arrayIPcLm2EEEEviT0_T1_.num_agpr, 0
	.set _ZN2at6native29vectorized_elementwise_kernelILi4EZZZNS0_12_GLOBAL__N_131spherical_bessel_j0_kernel_cudaERNS_18TensorIteratorBaseEENKUlvE_clEvENKUlvE0_clEvEUlfE_St5arrayIPcLm2EEEEviT0_T1_.numbered_sgpr, 13
	.set _ZN2at6native29vectorized_elementwise_kernelILi4EZZZNS0_12_GLOBAL__N_131spherical_bessel_j0_kernel_cudaERNS_18TensorIteratorBaseEENKUlvE_clEvENKUlvE0_clEvEUlfE_St5arrayIPcLm2EEEEviT0_T1_.num_named_barrier, 0
	.set _ZN2at6native29vectorized_elementwise_kernelILi4EZZZNS0_12_GLOBAL__N_131spherical_bessel_j0_kernel_cudaERNS_18TensorIteratorBaseEENKUlvE_clEvENKUlvE0_clEvEUlfE_St5arrayIPcLm2EEEEviT0_T1_.private_seg_size, 0
	.set _ZN2at6native29vectorized_elementwise_kernelILi4EZZZNS0_12_GLOBAL__N_131spherical_bessel_j0_kernel_cudaERNS_18TensorIteratorBaseEENKUlvE_clEvENKUlvE0_clEvEUlfE_St5arrayIPcLm2EEEEviT0_T1_.uses_vcc, 1
	.set _ZN2at6native29vectorized_elementwise_kernelILi4EZZZNS0_12_GLOBAL__N_131spherical_bessel_j0_kernel_cudaERNS_18TensorIteratorBaseEENKUlvE_clEvENKUlvE0_clEvEUlfE_St5arrayIPcLm2EEEEviT0_T1_.uses_flat_scratch, 0
	.set _ZN2at6native29vectorized_elementwise_kernelILi4EZZZNS0_12_GLOBAL__N_131spherical_bessel_j0_kernel_cudaERNS_18TensorIteratorBaseEENKUlvE_clEvENKUlvE0_clEvEUlfE_St5arrayIPcLm2EEEEviT0_T1_.has_dyn_sized_stack, 0
	.set _ZN2at6native29vectorized_elementwise_kernelILi4EZZZNS0_12_GLOBAL__N_131spherical_bessel_j0_kernel_cudaERNS_18TensorIteratorBaseEENKUlvE_clEvENKUlvE0_clEvEUlfE_St5arrayIPcLm2EEEEviT0_T1_.has_recursion, 0
	.set _ZN2at6native29vectorized_elementwise_kernelILi4EZZZNS0_12_GLOBAL__N_131spherical_bessel_j0_kernel_cudaERNS_18TensorIteratorBaseEENKUlvE_clEvENKUlvE0_clEvEUlfE_St5arrayIPcLm2EEEEviT0_T1_.has_indirect_call, 0
	.section	.AMDGPU.csdata,"",@progbits
; Kernel info:
; codeLenInByte = 8628
; TotalNumSgprs: 15
; NumVgprs: 22
; ScratchSize: 0
; MemoryBound: 0
; FloatMode: 240
; IeeeMode: 1
; LDSByteSize: 0 bytes/workgroup (compile time only)
; SGPRBlocks: 0
; VGPRBlocks: 2
; NumSGPRsForWavesPerEU: 15
; NumVGPRsForWavesPerEU: 22
; Occupancy: 16
; WaveLimiterHint : 0
; COMPUTE_PGM_RSRC2:SCRATCH_EN: 0
; COMPUTE_PGM_RSRC2:USER_SGPR: 6
; COMPUTE_PGM_RSRC2:TRAP_HANDLER: 0
; COMPUTE_PGM_RSRC2:TGID_X_EN: 1
; COMPUTE_PGM_RSRC2:TGID_Y_EN: 0
; COMPUTE_PGM_RSRC2:TGID_Z_EN: 0
; COMPUTE_PGM_RSRC2:TIDIG_COMP_CNT: 0
	.section	.text._ZN2at6native29vectorized_elementwise_kernelILi2EZZZNS0_12_GLOBAL__N_131spherical_bessel_j0_kernel_cudaERNS_18TensorIteratorBaseEENKUlvE_clEvENKUlvE0_clEvEUlfE_St5arrayIPcLm2EEEEviT0_T1_,"axG",@progbits,_ZN2at6native29vectorized_elementwise_kernelILi2EZZZNS0_12_GLOBAL__N_131spherical_bessel_j0_kernel_cudaERNS_18TensorIteratorBaseEENKUlvE_clEvENKUlvE0_clEvEUlfE_St5arrayIPcLm2EEEEviT0_T1_,comdat
	.globl	_ZN2at6native29vectorized_elementwise_kernelILi2EZZZNS0_12_GLOBAL__N_131spherical_bessel_j0_kernel_cudaERNS_18TensorIteratorBaseEENKUlvE_clEvENKUlvE0_clEvEUlfE_St5arrayIPcLm2EEEEviT0_T1_ ; -- Begin function _ZN2at6native29vectorized_elementwise_kernelILi2EZZZNS0_12_GLOBAL__N_131spherical_bessel_j0_kernel_cudaERNS_18TensorIteratorBaseEENKUlvE_clEvENKUlvE0_clEvEUlfE_St5arrayIPcLm2EEEEviT0_T1_
	.p2align	8
	.type	_ZN2at6native29vectorized_elementwise_kernelILi2EZZZNS0_12_GLOBAL__N_131spherical_bessel_j0_kernel_cudaERNS_18TensorIteratorBaseEENKUlvE_clEvENKUlvE0_clEvEUlfE_St5arrayIPcLm2EEEEviT0_T1_,@function
_ZN2at6native29vectorized_elementwise_kernelILi2EZZZNS0_12_GLOBAL__N_131spherical_bessel_j0_kernel_cudaERNS_18TensorIteratorBaseEENKUlvE_clEvENKUlvE0_clEvEUlfE_St5arrayIPcLm2EEEEviT0_T1_: ; @_ZN2at6native29vectorized_elementwise_kernelILi2EZZZNS0_12_GLOBAL__N_131spherical_bessel_j0_kernel_cudaERNS_18TensorIteratorBaseEENKUlvE_clEvENKUlvE0_clEvEUlfE_St5arrayIPcLm2EEEEviT0_T1_
; %bb.0:
	s_clause 0x1
	s_load_dword s0, s[4:5], 0x0
	s_load_dwordx4 s[8:11], s[4:5], 0x8
	s_lshl_b32 s4, s6, 10
	s_waitcnt lgkmcnt(0)
	s_sub_i32 s6, s0, s4
	s_mov_b32 s0, -1
	s_cmpk_gt_i32 s6, 0x3ff
	s_cbranch_scc0 .LBB11_42
; %bb.1:
	s_ashr_i32 s5, s4, 31
	v_lshlrev_b32_e32 v7, 3, v0
	s_lshl_b64 s[2:3], s[4:5], 2
	s_add_u32 s0, s10, s2
	s_addc_u32 s1, s11, s3
	v_add_co_u32 v1, s5, s0, v7
	v_add_co_ci_u32_e64 v2, null, s1, 0, s5
	global_load_dwordx2 v[5:6], v7, s[0:1]
	v_add_co_u32 v1, vcc_lo, 0x800, v1
	v_add_co_ci_u32_e64 v2, null, 0, v2, vcc_lo
	s_mov_b32 s5, exec_lo
	global_load_dwordx2 v[3:4], v[1:2], off
	v_mov_b32_e32 v2, 0
	v_mov_b32_e32 v1, 0
	s_waitcnt vmcnt(1)
	v_cmpx_neq_f32_e64 0x7f800000, |v5|
	s_cbranch_execz .LBB11_11
; %bb.2:
	s_mov_b32 s1, exec_lo
	v_cmpx_nlt_f32_e64 |v5|, 0.5
	s_xor_b32 s7, exec_lo, s1
	s_cbranch_execz .LBB11_8
; %bb.3:
	v_and_b32_e32 v1, 0x7fffffff, v5
                                        ; implicit-def: $vgpr9
                                        ; implicit-def: $vgpr8
	s_mov_b32 s1, exec_lo
	v_cmpx_ngt_f32_e64 0x48000000, |v5|
	s_xor_b32 s12, exec_lo, s1
	s_cbranch_execz .LBB11_5
; %bb.4:
	s_mov_b32 s0, 0x7fffff
	v_mov_b32_e32 v10, 0
	v_and_or_b32 v17, v1, s0, 0x800000
	v_lshrrev_b32_e32 v15, 23, v1
	v_mad_u64_u32 v[8:9], null, 0xfe5163ab, v17, 0
	v_add_nc_u32_e32 v16, 0xffffff88, v15
	v_cmp_lt_u32_e32 vcc_lo, 63, v16
	v_mad_u64_u32 v[11:12], null, 0x3c439041, v17, v[9:10]
	v_cndmask_b32_e64 v18, 0, 0xffffffc0, vcc_lo
	v_mov_b32_e32 v9, v12
	v_add_nc_u32_e32 v18, v18, v16
	v_mad_u64_u32 v[12:13], null, 0xdb629599, v17, v[9:10]
	v_cmp_lt_u32_e64 s0, 31, v18
	v_cndmask_b32_e64 v19, 0, 0xffffffe0, s0
	v_mov_b32_e32 v9, v13
	v_cndmask_b32_e32 v8, v12, v8, vcc_lo
	v_mad_u64_u32 v[13:14], null, 0xf534ddc0, v17, v[9:10]
	v_mov_b32_e32 v9, v14
	v_cndmask_b32_e32 v11, v13, v11, vcc_lo
	v_mad_u64_u32 v[14:15], null, 0xfc2757d1, v17, v[9:10]
	v_cndmask_b32_e64 v8, v11, v8, s0
	v_mov_b32_e32 v9, v15
	v_mad_u64_u32 v[15:16], null, 0x4e441529, v17, v[9:10]
	v_mov_b32_e32 v9, v16
	v_add_nc_u32_e32 v16, v19, v18
	v_cndmask_b32_e32 v18, v15, v13, vcc_lo
	v_mad_u64_u32 v[9:10], null, 0xa2f9836e, v17, v[9:10]
	v_cmp_lt_u32_e64 s1, 31, v16
	v_cndmask_b32_e64 v17, 0, 0xffffffe0, s1
	v_cndmask_b32_e32 v9, v9, v14, vcc_lo
	v_cndmask_b32_e32 v10, v10, v15, vcc_lo
	;; [unrolled: 1-line block ×3, first 2 shown]
	v_add_nc_u32_e32 v15, v17, v16
	v_cndmask_b32_e64 v13, v9, v18, s0
	v_cndmask_b32_e64 v9, v10, v9, s0
	;; [unrolled: 1-line block ×4, first 2 shown]
	v_sub_nc_u32_e32 v16, 32, v15
	v_cmp_eq_u32_e32 vcc_lo, 0, v15
	v_cndmask_b32_e64 v9, v9, v13, s1
	v_cndmask_b32_e64 v13, v13, v10, s1
	;; [unrolled: 1-line block ×4, first 2 shown]
	v_alignbit_b32 v17, v9, v13, v16
	v_alignbit_b32 v12, v13, v10, v16
	;; [unrolled: 1-line block ×3, first 2 shown]
	v_cndmask_b32_e32 v9, v17, v9, vcc_lo
	v_cndmask_b32_e32 v11, v12, v13, vcc_lo
	;; [unrolled: 1-line block ×3, first 2 shown]
	v_bfe_u32 v12, v9, 29, 1
	v_alignbit_b32 v13, v9, v11, 30
	v_alignbit_b32 v11, v11, v10, 30
	v_alignbit_b32 v8, v10, v8, 30
	v_sub_nc_u32_e32 v14, 0, v12
	v_xor_b32_e32 v13, v13, v14
	v_xor_b32_e32 v10, v11, v14
	;; [unrolled: 1-line block ×3, first 2 shown]
	v_lshrrev_b32_e32 v14, 29, v9
	v_lshrrev_b32_e32 v9, 30, v9
	v_ffbh_u32_e32 v15, v13
	v_add_nc_u32_e32 v9, v12, v9
	v_min_u32_e32 v15, 32, v15
	v_sub_nc_u32_e32 v11, 31, v15
	v_lshlrev_b32_e32 v16, 23, v15
	v_alignbit_b32 v13, v13, v10, v11
	v_alignbit_b32 v8, v10, v8, v11
	v_lshlrev_b32_e32 v10, 31, v14
	v_alignbit_b32 v11, v13, v8, 9
	v_or_b32_e32 v14, 0.5, v10
	v_lshrrev_b32_e32 v13, 9, v13
	v_or_b32_e32 v10, 0x33000000, v10
	v_ffbh_u32_e32 v17, v11
	v_sub_nc_u32_e32 v14, v14, v16
	v_min_u32_e32 v16, 32, v17
	v_or_b32_e32 v13, v13, v14
	v_not_b32_e32 v14, v16
	v_mul_f32_e32 v17, 0x3fc90fda, v13
	v_add_lshl_u32 v15, v16, v15, 23
	v_alignbit_b32 v8, v11, v8, v14
	v_fma_f32 v11, 0x3fc90fda, v13, -v17
	v_sub_nc_u32_e32 v10, v10, v15
	v_lshrrev_b32_e32 v8, 9, v8
	v_fmamk_f32 v11, v13, 0x33a22168, v11
	v_or_b32_e32 v8, v10, v8
	v_fmac_f32_e32 v11, 0x3fc90fda, v8
	v_add_f32_e32 v8, v17, v11
.LBB11_5:
	s_andn2_saveexec_b32 s0, s12
; %bb.6:
	v_mul_f32_e64 v8, 0x3f22f983, |v5|
	v_rndne_f32_e32 v9, v8
	v_fma_f32 v8, 0xbfc90fda, v9, |v5|
	v_fmamk_f32 v8, v9, 0xb3a22168, v8
	v_fmamk_f32 v8, v9, 0xa7c234c4, v8
	v_cvt_i32_f32_e32 v9, v9
; %bb.7:
	s_or_b32 exec_lo, exec_lo, s0
	v_mul_f32_e32 v10, v8, v8
	s_mov_b32 s0, 0xb94c1982
	s_mov_b32 s1, 0x37d75334
	v_and_b32_e32 v13, 1, v9
	v_lshlrev_b32_e32 v9, 30, v9
	v_fmaak_f32 v11, s0, v10, 0x3c0881c4
	v_fmaak_f32 v12, s1, v10, 0xbab64f3b
	v_xor_b32_e32 v1, v1, v5
	v_cmp_eq_u32_e32 vcc_lo, 0, v13
	v_and_b32_e32 v9, 0x80000000, v9
	v_fmaak_f32 v11, v10, v11, 0xbe2aaa9d
	v_fmaak_f32 v12, v10, v12, 0x3d2aabf7
	v_mul_f32_e32 v11, v10, v11
	v_fmaak_f32 v12, v10, v12, 0xbf000004
	v_fmac_f32_e32 v8, v8, v11
	v_fma_f32 v10, v10, v12, 1.0
	v_cndmask_b32_e32 v8, v10, v8, vcc_lo
	v_cmp_class_f32_e64 vcc_lo, v5, 0x1f8
	v_xor3_b32 v1, v1, v9, v8
	v_cndmask_b32_e32 v1, 0x7fc00000, v1, vcc_lo
	v_div_scale_f32 v8, null, v5, v5, v1
	v_rcp_f32_e32 v9, v8
	v_fma_f32 v10, -v8, v9, 1.0
	v_fmac_f32_e32 v9, v10, v9
	v_div_scale_f32 v10, vcc_lo, v1, v5, v1
	v_mul_f32_e32 v11, v10, v9
	v_fma_f32 v12, -v8, v11, v10
	v_fmac_f32_e32 v11, v12, v9
	v_fma_f32 v8, -v8, v11, v10
	v_div_fmas_f32 v8, v8, v9, v11
	v_div_fixup_f32 v1, v8, v5, v1
.LBB11_8:
	s_andn2_saveexec_b32 s0, s7
	s_cbranch_execz .LBB11_10
; %bb.9:
	v_mul_f32_e32 v1, v5, v5
	s_mov_b32 s1, 0x2f309231
	v_fmaak_f32 v5, s1, v1, 0xb2d7322b
	v_fmaak_f32 v5, v1, v5, 0x3638ef1d
	;; [unrolled: 1-line block ×5, first 2 shown]
	v_fma_f32 v1, v1, v5, 1.0
.LBB11_10:
	s_or_b32 exec_lo, exec_lo, s0
.LBB11_11:
	s_or_b32 exec_lo, exec_lo, s5
	s_mov_b32 s5, exec_lo
	v_cmpx_neq_f32_e64 0x7f800000, |v6|
	s_cbranch_execz .LBB11_21
; %bb.12:
	s_mov_b32 s1, exec_lo
	v_cmpx_nlt_f32_e64 |v6|, 0.5
	s_xor_b32 s7, exec_lo, s1
	s_cbranch_execz .LBB11_18
; %bb.13:
	v_and_b32_e32 v2, 0x7fffffff, v6
                                        ; implicit-def: $vgpr8
                                        ; implicit-def: $vgpr5
	s_mov_b32 s1, exec_lo
	v_cmpx_ngt_f32_e64 0x48000000, |v6|
	s_xor_b32 s12, exec_lo, s1
	s_cbranch_execz .LBB11_15
; %bb.14:
	s_mov_b32 s0, 0x7fffff
	v_mov_b32_e32 v10, 0
	v_and_or_b32 v5, v2, s0, 0x800000
	v_lshrrev_b32_e32 v15, 23, v2
	v_mad_u64_u32 v[8:9], null, 0xfe5163ab, v5, 0
	v_add_nc_u32_e32 v16, 0xffffff88, v15
	v_cmp_lt_u32_e32 vcc_lo, 63, v16
	v_mad_u64_u32 v[11:12], null, 0x3c439041, v5, v[9:10]
	v_cndmask_b32_e64 v17, 0, 0xffffffc0, vcc_lo
	v_mov_b32_e32 v9, v12
	v_add_nc_u32_e32 v17, v17, v16
	v_mad_u64_u32 v[12:13], null, 0xdb629599, v5, v[9:10]
	v_cmp_lt_u32_e64 s0, 31, v17
	v_cndmask_b32_e64 v18, 0, 0xffffffe0, s0
	v_mov_b32_e32 v9, v13
	v_cndmask_b32_e32 v8, v12, v8, vcc_lo
	v_mad_u64_u32 v[13:14], null, 0xf534ddc0, v5, v[9:10]
	v_mov_b32_e32 v9, v14
	v_cndmask_b32_e32 v11, v13, v11, vcc_lo
	v_mad_u64_u32 v[14:15], null, 0xfc2757d1, v5, v[9:10]
	v_cndmask_b32_e64 v8, v11, v8, s0
	v_mov_b32_e32 v9, v15
	v_mad_u64_u32 v[15:16], null, 0x4e441529, v5, v[9:10]
	v_mov_b32_e32 v9, v16
	v_add_nc_u32_e32 v16, v18, v17
	v_cndmask_b32_e32 v17, v15, v13, vcc_lo
	v_mad_u64_u32 v[9:10], null, 0xa2f9836e, v5, v[9:10]
	v_cmp_lt_u32_e64 s1, 31, v16
	v_cndmask_b32_e64 v5, 0, 0xffffffe0, s1
	v_cndmask_b32_e32 v9, v9, v14, vcc_lo
	v_cndmask_b32_e32 v10, v10, v15, vcc_lo
	v_cndmask_b32_e32 v14, v14, v12, vcc_lo
	v_add_nc_u32_e32 v5, v5, v16
	v_cndmask_b32_e64 v13, v9, v17, s0
	v_cndmask_b32_e64 v9, v10, v9, s0
	;; [unrolled: 1-line block ×4, first 2 shown]
	v_sub_nc_u32_e32 v15, 32, v5
	v_cmp_eq_u32_e32 vcc_lo, 0, v5
	v_cndmask_b32_e64 v9, v9, v13, s1
	v_cndmask_b32_e64 v13, v13, v10, s1
	;; [unrolled: 1-line block ×4, first 2 shown]
	v_alignbit_b32 v16, v9, v13, v15
	v_alignbit_b32 v12, v13, v10, v15
	;; [unrolled: 1-line block ×3, first 2 shown]
	v_cndmask_b32_e32 v5, v16, v9, vcc_lo
	v_cndmask_b32_e32 v9, v12, v13, vcc_lo
	v_cndmask_b32_e32 v10, v14, v10, vcc_lo
	v_bfe_u32 v11, v5, 29, 1
	v_alignbit_b32 v12, v5, v9, 30
	v_alignbit_b32 v9, v9, v10, 30
	;; [unrolled: 1-line block ×3, first 2 shown]
	v_sub_nc_u32_e32 v13, 0, v11
	v_xor_b32_e32 v12, v12, v13
	v_xor_b32_e32 v9, v9, v13
	;; [unrolled: 1-line block ×3, first 2 shown]
	v_lshrrev_b32_e32 v13, 29, v5
	v_ffbh_u32_e32 v14, v12
	v_min_u32_e32 v14, 32, v14
	v_sub_nc_u32_e32 v10, 31, v14
	v_lshlrev_b32_e32 v15, 23, v14
	v_alignbit_b32 v12, v12, v9, v10
	v_alignbit_b32 v8, v9, v8, v10
	v_lshlrev_b32_e32 v9, 31, v13
	v_alignbit_b32 v10, v12, v8, 9
	v_or_b32_e32 v13, 0.5, v9
	v_lshrrev_b32_e32 v12, 9, v12
	v_or_b32_e32 v9, 0x33000000, v9
	v_ffbh_u32_e32 v16, v10
	v_sub_nc_u32_e32 v13, v13, v15
	v_min_u32_e32 v15, 32, v16
	v_or_b32_e32 v12, v12, v13
	v_not_b32_e32 v13, v15
	v_mul_f32_e32 v16, 0x3fc90fda, v12
	v_add_lshl_u32 v14, v15, v14, 23
	v_alignbit_b32 v8, v10, v8, v13
	v_fma_f32 v10, 0x3fc90fda, v12, -v16
	v_sub_nc_u32_e32 v9, v9, v14
	v_lshrrev_b32_e32 v8, 9, v8
	v_fmamk_f32 v10, v12, 0x33a22168, v10
	v_or_b32_e32 v8, v9, v8
	v_fmac_f32_e32 v10, 0x3fc90fda, v8
	v_lshrrev_b32_e32 v8, 30, v5
	v_add_f32_e32 v5, v16, v10
	v_add_nc_u32_e32 v8, v11, v8
.LBB11_15:
	s_andn2_saveexec_b32 s0, s12
; %bb.16:
	v_mul_f32_e64 v5, 0x3f22f983, |v6|
	v_rndne_f32_e32 v8, v5
	v_fma_f32 v5, 0xbfc90fda, v8, |v6|
	v_fmamk_f32 v5, v8, 0xb3a22168, v5
	v_fmamk_f32 v5, v8, 0xa7c234c4, v5
	v_cvt_i32_f32_e32 v8, v8
; %bb.17:
	s_or_b32 exec_lo, exec_lo, s0
	v_mul_f32_e32 v9, v5, v5
	s_mov_b32 s0, 0xb94c1982
	s_mov_b32 s1, 0x37d75334
	v_and_b32_e32 v12, 1, v8
	v_lshlrev_b32_e32 v8, 30, v8
	v_fmaak_f32 v10, s0, v9, 0x3c0881c4
	v_fmaak_f32 v11, s1, v9, 0xbab64f3b
	v_xor_b32_e32 v2, v2, v6
	v_cmp_eq_u32_e32 vcc_lo, 0, v12
	v_and_b32_e32 v8, 0x80000000, v8
	v_fmaak_f32 v10, v9, v10, 0xbe2aaa9d
	v_fmaak_f32 v11, v9, v11, 0x3d2aabf7
	v_mul_f32_e32 v10, v9, v10
	v_fmaak_f32 v11, v9, v11, 0xbf000004
	v_fmac_f32_e32 v5, v5, v10
	v_fma_f32 v9, v9, v11, 1.0
	v_cndmask_b32_e32 v5, v9, v5, vcc_lo
	v_cmp_class_f32_e64 vcc_lo, v6, 0x1f8
	v_xor3_b32 v2, v2, v8, v5
	v_cndmask_b32_e32 v2, 0x7fc00000, v2, vcc_lo
	v_div_scale_f32 v5, null, v6, v6, v2
	v_rcp_f32_e32 v8, v5
	v_fma_f32 v9, -v5, v8, 1.0
	v_fmac_f32_e32 v8, v9, v8
	v_div_scale_f32 v9, vcc_lo, v2, v6, v2
	v_mul_f32_e32 v10, v9, v8
	v_fma_f32 v11, -v5, v10, v9
	v_fmac_f32_e32 v10, v11, v8
	v_fma_f32 v5, -v5, v10, v9
	v_div_fmas_f32 v5, v5, v8, v10
	v_div_fixup_f32 v2, v5, v6, v2
                                        ; implicit-def: $vgpr5_vgpr6
.LBB11_18:
	s_andn2_saveexec_b32 s0, s7
	s_cbranch_execz .LBB11_20
; %bb.19:
	v_mul_f32_e32 v2, v6, v6
	s_mov_b32 s1, 0x2f309231
	v_fmaak_f32 v5, s1, v2, 0xb2d7322b
	v_fmaak_f32 v5, v2, v5, 0x3638ef1d
	;; [unrolled: 1-line block ×5, first 2 shown]
	v_fma_f32 v2, v2, v5, 1.0
.LBB11_20:
	s_or_b32 exec_lo, exec_lo, s0
.LBB11_21:
	s_or_b32 exec_lo, exec_lo, s5
	v_mov_b32_e32 v6, 0
	v_mov_b32_e32 v5, 0
	s_mov_b32 s5, exec_lo
	s_waitcnt vmcnt(0)
	v_cmpx_neq_f32_e64 0x7f800000, |v3|
	s_cbranch_execz .LBB11_31
; %bb.22:
	s_mov_b32 s1, exec_lo
	v_cmpx_nlt_f32_e64 |v3|, 0.5
	s_xor_b32 s7, exec_lo, s1
	s_cbranch_execz .LBB11_28
; %bb.23:
	v_and_b32_e32 v5, 0x7fffffff, v3
                                        ; implicit-def: $vgpr9
                                        ; implicit-def: $vgpr8
	s_mov_b32 s1, exec_lo
	v_cmpx_ngt_f32_e64 0x48000000, |v3|
	s_xor_b32 s12, exec_lo, s1
	s_cbranch_execz .LBB11_25
; %bb.24:
	s_mov_b32 s0, 0x7fffff
	v_mov_b32_e32 v10, 0
	v_and_or_b32 v17, v5, s0, 0x800000
	v_lshrrev_b32_e32 v15, 23, v5
	v_mad_u64_u32 v[8:9], null, 0xfe5163ab, v17, 0
	v_add_nc_u32_e32 v16, 0xffffff88, v15
	v_cmp_lt_u32_e32 vcc_lo, 63, v16
	v_mad_u64_u32 v[11:12], null, 0x3c439041, v17, v[9:10]
	v_cndmask_b32_e64 v18, 0, 0xffffffc0, vcc_lo
	v_mov_b32_e32 v9, v12
	v_add_nc_u32_e32 v18, v18, v16
	v_mad_u64_u32 v[12:13], null, 0xdb629599, v17, v[9:10]
	v_cmp_lt_u32_e64 s0, 31, v18
	v_cndmask_b32_e64 v19, 0, 0xffffffe0, s0
	v_mov_b32_e32 v9, v13
	v_cndmask_b32_e32 v8, v12, v8, vcc_lo
	v_mad_u64_u32 v[13:14], null, 0xf534ddc0, v17, v[9:10]
	v_mov_b32_e32 v9, v14
	v_cndmask_b32_e32 v11, v13, v11, vcc_lo
	v_mad_u64_u32 v[14:15], null, 0xfc2757d1, v17, v[9:10]
	v_cndmask_b32_e64 v8, v11, v8, s0
	v_mov_b32_e32 v9, v15
	v_mad_u64_u32 v[15:16], null, 0x4e441529, v17, v[9:10]
	v_mov_b32_e32 v9, v16
	v_add_nc_u32_e32 v16, v19, v18
	v_cndmask_b32_e32 v18, v15, v13, vcc_lo
	v_mad_u64_u32 v[9:10], null, 0xa2f9836e, v17, v[9:10]
	v_cmp_lt_u32_e64 s1, 31, v16
	v_cndmask_b32_e64 v17, 0, 0xffffffe0, s1
	v_cndmask_b32_e32 v9, v9, v14, vcc_lo
	v_cndmask_b32_e32 v10, v10, v15, vcc_lo
	;; [unrolled: 1-line block ×3, first 2 shown]
	v_add_nc_u32_e32 v15, v17, v16
	v_cndmask_b32_e64 v13, v9, v18, s0
	v_cndmask_b32_e64 v9, v10, v9, s0
	;; [unrolled: 1-line block ×4, first 2 shown]
	v_sub_nc_u32_e32 v16, 32, v15
	v_cmp_eq_u32_e32 vcc_lo, 0, v15
	v_cndmask_b32_e64 v9, v9, v13, s1
	v_cndmask_b32_e64 v13, v13, v10, s1
	;; [unrolled: 1-line block ×4, first 2 shown]
	v_alignbit_b32 v17, v9, v13, v16
	v_alignbit_b32 v12, v13, v10, v16
	;; [unrolled: 1-line block ×3, first 2 shown]
	v_cndmask_b32_e32 v9, v17, v9, vcc_lo
	v_cndmask_b32_e32 v11, v12, v13, vcc_lo
	v_cndmask_b32_e32 v10, v15, v10, vcc_lo
	v_bfe_u32 v12, v9, 29, 1
	v_alignbit_b32 v13, v9, v11, 30
	v_alignbit_b32 v11, v11, v10, 30
	;; [unrolled: 1-line block ×3, first 2 shown]
	v_sub_nc_u32_e32 v14, 0, v12
	v_xor_b32_e32 v13, v13, v14
	v_xor_b32_e32 v10, v11, v14
	;; [unrolled: 1-line block ×3, first 2 shown]
	v_lshrrev_b32_e32 v14, 29, v9
	v_lshrrev_b32_e32 v9, 30, v9
	v_ffbh_u32_e32 v15, v13
	v_add_nc_u32_e32 v9, v12, v9
	v_min_u32_e32 v15, 32, v15
	v_sub_nc_u32_e32 v11, 31, v15
	v_lshlrev_b32_e32 v16, 23, v15
	v_alignbit_b32 v13, v13, v10, v11
	v_alignbit_b32 v8, v10, v8, v11
	v_lshlrev_b32_e32 v10, 31, v14
	v_alignbit_b32 v11, v13, v8, 9
	v_or_b32_e32 v14, 0.5, v10
	v_lshrrev_b32_e32 v13, 9, v13
	v_or_b32_e32 v10, 0x33000000, v10
	v_ffbh_u32_e32 v17, v11
	v_sub_nc_u32_e32 v14, v14, v16
	v_min_u32_e32 v16, 32, v17
	v_or_b32_e32 v13, v13, v14
	v_not_b32_e32 v14, v16
	v_mul_f32_e32 v17, 0x3fc90fda, v13
	v_add_lshl_u32 v15, v16, v15, 23
	v_alignbit_b32 v8, v11, v8, v14
	v_fma_f32 v11, 0x3fc90fda, v13, -v17
	v_sub_nc_u32_e32 v10, v10, v15
	v_lshrrev_b32_e32 v8, 9, v8
	v_fmamk_f32 v11, v13, 0x33a22168, v11
	v_or_b32_e32 v8, v10, v8
	v_fmac_f32_e32 v11, 0x3fc90fda, v8
	v_add_f32_e32 v8, v17, v11
.LBB11_25:
	s_andn2_saveexec_b32 s0, s12
; %bb.26:
	v_mul_f32_e64 v8, 0x3f22f983, |v3|
	v_rndne_f32_e32 v9, v8
	v_fma_f32 v8, 0xbfc90fda, v9, |v3|
	v_fmamk_f32 v8, v9, 0xb3a22168, v8
	v_fmamk_f32 v8, v9, 0xa7c234c4, v8
	v_cvt_i32_f32_e32 v9, v9
; %bb.27:
	s_or_b32 exec_lo, exec_lo, s0
	v_mul_f32_e32 v10, v8, v8
	s_mov_b32 s0, 0xb94c1982
	s_mov_b32 s1, 0x37d75334
	v_and_b32_e32 v13, 1, v9
	v_lshlrev_b32_e32 v9, 30, v9
	v_fmaak_f32 v11, s0, v10, 0x3c0881c4
	v_fmaak_f32 v12, s1, v10, 0xbab64f3b
	v_xor_b32_e32 v5, v5, v3
	v_cmp_eq_u32_e32 vcc_lo, 0, v13
	v_and_b32_e32 v9, 0x80000000, v9
	v_fmaak_f32 v11, v10, v11, 0xbe2aaa9d
	v_fmaak_f32 v12, v10, v12, 0x3d2aabf7
	v_mul_f32_e32 v11, v10, v11
	v_fmaak_f32 v12, v10, v12, 0xbf000004
	v_fmac_f32_e32 v8, v8, v11
	v_fma_f32 v10, v10, v12, 1.0
	v_cndmask_b32_e32 v8, v10, v8, vcc_lo
	v_cmp_class_f32_e64 vcc_lo, v3, 0x1f8
	v_xor3_b32 v5, v5, v9, v8
	v_cndmask_b32_e32 v5, 0x7fc00000, v5, vcc_lo
	v_div_scale_f32 v8, null, v3, v3, v5
	v_rcp_f32_e32 v9, v8
	v_fma_f32 v10, -v8, v9, 1.0
	v_fmac_f32_e32 v9, v10, v9
	v_div_scale_f32 v10, vcc_lo, v5, v3, v5
	v_mul_f32_e32 v11, v10, v9
	v_fma_f32 v12, -v8, v11, v10
	v_fmac_f32_e32 v11, v12, v9
	v_fma_f32 v8, -v8, v11, v10
	v_div_fmas_f32 v8, v8, v9, v11
	v_div_fixup_f32 v5, v8, v3, v5
.LBB11_28:
	s_andn2_saveexec_b32 s0, s7
	s_cbranch_execz .LBB11_30
; %bb.29:
	v_mul_f32_e32 v3, v3, v3
	s_mov_b32 s1, 0x2f309231
	v_fmaak_f32 v5, s1, v3, 0xb2d7322b
	v_fmaak_f32 v5, v3, v5, 0x3638ef1d
	;; [unrolled: 1-line block ×5, first 2 shown]
	v_fma_f32 v5, v3, v5, 1.0
.LBB11_30:
	s_or_b32 exec_lo, exec_lo, s0
.LBB11_31:
	s_or_b32 exec_lo, exec_lo, s5
	s_mov_b32 s5, exec_lo
	v_cmpx_neq_f32_e64 0x7f800000, |v4|
	s_cbranch_execz .LBB11_41
; %bb.32:
	s_mov_b32 s1, exec_lo
	v_cmpx_nlt_f32_e64 |v4|, 0.5
	s_xor_b32 s7, exec_lo, s1
	s_cbranch_execz .LBB11_38
; %bb.33:
	v_and_b32_e32 v3, 0x7fffffff, v4
                                        ; implicit-def: $vgpr8
                                        ; implicit-def: $vgpr6
	s_mov_b32 s1, exec_lo
	v_cmpx_ngt_f32_e64 0x48000000, |v4|
	s_xor_b32 s12, exec_lo, s1
	s_cbranch_execz .LBB11_35
; %bb.34:
	s_mov_b32 s0, 0x7fffff
	v_mov_b32_e32 v10, 0
	v_and_or_b32 v6, v3, s0, 0x800000
	v_lshrrev_b32_e32 v15, 23, v3
	v_mad_u64_u32 v[8:9], null, 0xfe5163ab, v6, 0
	v_add_nc_u32_e32 v16, 0xffffff88, v15
	v_cmp_lt_u32_e32 vcc_lo, 63, v16
	v_mad_u64_u32 v[11:12], null, 0x3c439041, v6, v[9:10]
	v_cndmask_b32_e64 v17, 0, 0xffffffc0, vcc_lo
	v_mov_b32_e32 v9, v12
	v_add_nc_u32_e32 v17, v17, v16
	v_mad_u64_u32 v[12:13], null, 0xdb629599, v6, v[9:10]
	v_cmp_lt_u32_e64 s0, 31, v17
	v_cndmask_b32_e64 v18, 0, 0xffffffe0, s0
	v_mov_b32_e32 v9, v13
	v_cndmask_b32_e32 v8, v12, v8, vcc_lo
	v_mad_u64_u32 v[13:14], null, 0xf534ddc0, v6, v[9:10]
	v_mov_b32_e32 v9, v14
	v_cndmask_b32_e32 v11, v13, v11, vcc_lo
	v_mad_u64_u32 v[14:15], null, 0xfc2757d1, v6, v[9:10]
	v_cndmask_b32_e64 v8, v11, v8, s0
	v_mov_b32_e32 v9, v15
	v_mad_u64_u32 v[15:16], null, 0x4e441529, v6, v[9:10]
	v_mov_b32_e32 v9, v16
	v_add_nc_u32_e32 v16, v18, v17
	v_cndmask_b32_e32 v17, v15, v13, vcc_lo
	v_mad_u64_u32 v[9:10], null, 0xa2f9836e, v6, v[9:10]
	v_cmp_lt_u32_e64 s1, 31, v16
	v_cndmask_b32_e64 v6, 0, 0xffffffe0, s1
	v_cndmask_b32_e32 v9, v9, v14, vcc_lo
	v_cndmask_b32_e32 v10, v10, v15, vcc_lo
	;; [unrolled: 1-line block ×3, first 2 shown]
	v_add_nc_u32_e32 v6, v6, v16
	v_cndmask_b32_e64 v13, v9, v17, s0
	v_cndmask_b32_e64 v9, v10, v9, s0
	;; [unrolled: 1-line block ×4, first 2 shown]
	v_sub_nc_u32_e32 v15, 32, v6
	v_cmp_eq_u32_e32 vcc_lo, 0, v6
	v_cndmask_b32_e64 v9, v9, v13, s1
	v_cndmask_b32_e64 v13, v13, v10, s1
	;; [unrolled: 1-line block ×4, first 2 shown]
	v_alignbit_b32 v16, v9, v13, v15
	v_alignbit_b32 v12, v13, v10, v15
	;; [unrolled: 1-line block ×3, first 2 shown]
	v_cndmask_b32_e32 v6, v16, v9, vcc_lo
	v_cndmask_b32_e32 v9, v12, v13, vcc_lo
	;; [unrolled: 1-line block ×3, first 2 shown]
	v_bfe_u32 v11, v6, 29, 1
	v_alignbit_b32 v12, v6, v9, 30
	v_alignbit_b32 v9, v9, v10, 30
	;; [unrolled: 1-line block ×3, first 2 shown]
	v_sub_nc_u32_e32 v13, 0, v11
	v_xor_b32_e32 v12, v12, v13
	v_xor_b32_e32 v9, v9, v13
	;; [unrolled: 1-line block ×3, first 2 shown]
	v_lshrrev_b32_e32 v13, 29, v6
	v_ffbh_u32_e32 v14, v12
	v_min_u32_e32 v14, 32, v14
	v_sub_nc_u32_e32 v10, 31, v14
	v_lshlrev_b32_e32 v15, 23, v14
	v_alignbit_b32 v12, v12, v9, v10
	v_alignbit_b32 v8, v9, v8, v10
	v_lshlrev_b32_e32 v9, 31, v13
	v_alignbit_b32 v10, v12, v8, 9
	v_or_b32_e32 v13, 0.5, v9
	v_lshrrev_b32_e32 v12, 9, v12
	v_or_b32_e32 v9, 0x33000000, v9
	v_ffbh_u32_e32 v16, v10
	v_sub_nc_u32_e32 v13, v13, v15
	v_min_u32_e32 v15, 32, v16
	v_or_b32_e32 v12, v12, v13
	v_not_b32_e32 v13, v15
	v_mul_f32_e32 v16, 0x3fc90fda, v12
	v_add_lshl_u32 v14, v15, v14, 23
	v_alignbit_b32 v8, v10, v8, v13
	v_fma_f32 v10, 0x3fc90fda, v12, -v16
	v_sub_nc_u32_e32 v9, v9, v14
	v_lshrrev_b32_e32 v8, 9, v8
	v_fmamk_f32 v10, v12, 0x33a22168, v10
	v_or_b32_e32 v8, v9, v8
	v_fmac_f32_e32 v10, 0x3fc90fda, v8
	v_lshrrev_b32_e32 v8, 30, v6
	v_add_f32_e32 v6, v16, v10
	v_add_nc_u32_e32 v8, v11, v8
.LBB11_35:
	s_andn2_saveexec_b32 s0, s12
; %bb.36:
	v_mul_f32_e64 v6, 0x3f22f983, |v4|
	v_rndne_f32_e32 v8, v6
	v_fma_f32 v6, 0xbfc90fda, v8, |v4|
	v_fmamk_f32 v6, v8, 0xb3a22168, v6
	v_fmamk_f32 v6, v8, 0xa7c234c4, v6
	v_cvt_i32_f32_e32 v8, v8
; %bb.37:
	s_or_b32 exec_lo, exec_lo, s0
	v_mul_f32_e32 v9, v6, v6
	s_mov_b32 s0, 0xb94c1982
	s_mov_b32 s1, 0x37d75334
	v_and_b32_e32 v12, 1, v8
	v_lshlrev_b32_e32 v8, 30, v8
	v_fmaak_f32 v10, s0, v9, 0x3c0881c4
	v_fmaak_f32 v11, s1, v9, 0xbab64f3b
	v_xor_b32_e32 v3, v3, v4
	v_cmp_eq_u32_e32 vcc_lo, 0, v12
	v_and_b32_e32 v8, 0x80000000, v8
	v_fmaak_f32 v10, v9, v10, 0xbe2aaa9d
	v_fmaak_f32 v11, v9, v11, 0x3d2aabf7
	v_mul_f32_e32 v10, v9, v10
	v_fmaak_f32 v11, v9, v11, 0xbf000004
	v_fmac_f32_e32 v6, v6, v10
	v_fma_f32 v9, v9, v11, 1.0
	v_cndmask_b32_e32 v6, v9, v6, vcc_lo
	v_cmp_class_f32_e64 vcc_lo, v4, 0x1f8
	v_xor3_b32 v3, v3, v8, v6
	v_cndmask_b32_e32 v3, 0x7fc00000, v3, vcc_lo
	v_div_scale_f32 v6, null, v4, v4, v3
	v_rcp_f32_e32 v8, v6
	v_fma_f32 v9, -v6, v8, 1.0
	v_fmac_f32_e32 v8, v9, v8
	v_div_scale_f32 v9, vcc_lo, v3, v4, v3
	v_mul_f32_e32 v10, v9, v8
	v_fma_f32 v11, -v6, v10, v9
	v_fmac_f32_e32 v10, v11, v8
	v_fma_f32 v6, -v6, v10, v9
	v_div_fmas_f32 v6, v6, v8, v10
	v_div_fixup_f32 v6, v6, v4, v3
                                        ; implicit-def: $vgpr3_vgpr4
.LBB11_38:
	s_andn2_saveexec_b32 s0, s7
	s_cbranch_execz .LBB11_40
; %bb.39:
	v_mul_f32_e32 v3, v4, v4
	s_mov_b32 s1, 0x2f309231
	v_fmaak_f32 v4, s1, v3, 0xb2d7322b
	v_fmaak_f32 v4, v3, v4, 0x3638ef1d
	;; [unrolled: 1-line block ×5, first 2 shown]
	v_fma_f32 v6, v3, v4, 1.0
.LBB11_40:
	s_or_b32 exec_lo, exec_lo, s0
.LBB11_41:
	s_or_b32 exec_lo, exec_lo, s5
	s_add_u32 s0, s8, s2
	s_addc_u32 s1, s9, s3
	v_add_co_u32 v3, s2, s0, v7
	v_add_co_ci_u32_e64 v4, null, s1, 0, s2
	global_store_dwordx2 v7, v[1:2], s[0:1]
	v_add_co_u32 v3, vcc_lo, 0x800, v3
	v_add_co_ci_u32_e64 v4, null, 0, v4, vcc_lo
	s_mov_b32 s0, 0
	global_store_dwordx2 v[3:4], v[5:6], off
.LBB11_42:
	s_and_b32 vcc_lo, exec_lo, s0
	s_cbranch_vccz .LBB11_93
; %bb.43:
	v_cmp_gt_i32_e64 s0, s6, v0
	v_mov_b32_e32 v10, 0
	v_or_b32_e32 v6, s4, v0
	v_or_b32_e32 v8, 0x100, v0
	v_mov_b32_e32 v5, 0
	v_mov_b32_e32 v1, v0
	s_and_saveexec_b32 s1, s0
	s_cbranch_execz .LBB11_45
; %bb.44:
	v_mov_b32_e32 v7, 0
	v_lshlrev_b64 v[1:2], 2, v[6:7]
	v_add_co_u32 v1, vcc_lo, s10, v1
	v_add_co_ci_u32_e64 v2, null, s11, v2, vcc_lo
	global_load_dword v5, v[1:2], off
	v_or_b32_e32 v1, 0x100, v0
.LBB11_45:
	s_or_b32 exec_lo, exec_lo, s1
	s_mov_b32 s1, exec_lo
	v_cmpx_gt_i32_e64 s6, v1
	s_cbranch_execz .LBB11_47
; %bb.46:
	v_add_nc_u32_e32 v2, s4, v1
	v_mov_b32_e32 v3, 0
	v_add_nc_u32_e32 v1, 0x100, v1
	v_lshlrev_b64 v[2:3], 2, v[2:3]
	v_add_co_u32 v2, vcc_lo, s10, v2
	v_add_co_ci_u32_e64 v3, null, s11, v3, vcc_lo
	global_load_dword v10, v[2:3], off
.LBB11_47:
	s_or_b32 exec_lo, exec_lo, s1
	v_mov_b32_e32 v7, 0
	v_mov_b32_e32 v9, 0
	s_mov_b32 s1, exec_lo
	v_cmpx_gt_i32_e64 s6, v1
	s_cbranch_execz .LBB11_49
; %bb.48:
	v_add_nc_u32_e32 v2, s4, v1
	v_mov_b32_e32 v3, 0
	v_add_nc_u32_e32 v1, 0x100, v1
	v_lshlrev_b64 v[2:3], 2, v[2:3]
	v_add_co_u32 v2, vcc_lo, s10, v2
	v_add_co_ci_u32_e64 v3, null, s11, v3, vcc_lo
	global_load_dword v9, v[2:3], off
.LBB11_49:
	s_or_b32 exec_lo, exec_lo, s1
	s_mov_b32 s1, exec_lo
	v_cmpx_gt_i32_e64 s6, v1
	s_cbranch_execz .LBB11_51
; %bb.50:
	v_add_nc_u32_e32 v1, s4, v1
	v_mov_b32_e32 v2, 0
	v_lshlrev_b64 v[1:2], 2, v[1:2]
	v_add_co_u32 v1, vcc_lo, s10, v1
	v_add_co_ci_u32_e64 v2, null, s11, v2, vcc_lo
	global_load_dword v7, v[1:2], off
.LBB11_51:
	s_or_b32 exec_lo, exec_lo, s1
	v_mov_b32_e32 v1, 0
	v_mov_b32_e32 v2, v1
	;; [unrolled: 1-line block ×4, first 2 shown]
	s_and_saveexec_b32 s3, s0
	s_cbranch_execz .LBB11_63
; %bb.52:
	v_mov_b32_e32 v2, 0
	s_mov_b32 s5, exec_lo
	s_waitcnt vmcnt(0)
	v_cmpx_neq_f32_e64 0x7f800000, |v5|
	s_cbranch_execz .LBB11_62
; %bb.53:
                                        ; implicit-def: $vgpr2
	s_mov_b32 s2, exec_lo
	v_cmpx_nlt_f32_e64 |v5|, 0.5
	s_xor_b32 s7, exec_lo, s2
	s_cbranch_execz .LBB11_59
; %bb.54:
	v_and_b32_e32 v2, 0x7fffffff, v5
                                        ; implicit-def: $vgpr4
                                        ; implicit-def: $vgpr3
	s_mov_b32 s2, exec_lo
	v_cmpx_ngt_f32_e64 0x48000000, |v5|
	s_xor_b32 s10, exec_lo, s2
	s_cbranch_execz .LBB11_56
; %bb.55:
	s_mov_b32 s1, 0x7fffff
	v_mov_b32_e32 v12, 0
	v_and_or_b32 v19, v2, s1, 0x800000
	v_mad_u64_u32 v[3:4], null, 0xfe5163ab, v19, 0
	v_mov_b32_e32 v11, v4
	v_lshrrev_b32_e32 v4, 23, v2
	v_mad_u64_u32 v[13:14], null, 0x3c439041, v19, v[11:12]
	v_add_nc_u32_e32 v4, 0xffffff88, v4
	v_cmp_lt_u32_e32 vcc_lo, 63, v4
	v_mov_b32_e32 v11, v14
	v_cndmask_b32_e64 v18, 0, 0xffffffc0, vcc_lo
	v_mad_u64_u32 v[14:15], null, 0xdb629599, v19, v[11:12]
	v_add_nc_u32_e32 v4, v18, v4
	v_mov_b32_e32 v11, v15
	v_cmp_lt_u32_e64 s1, 31, v4
	v_cndmask_b32_e32 v3, v14, v3, vcc_lo
	v_mad_u64_u32 v[15:16], null, 0xf534ddc0, v19, v[11:12]
	v_cndmask_b32_e64 v20, 0, 0xffffffe0, s1
	v_add_nc_u32_e32 v4, v20, v4
	v_mov_b32_e32 v11, v16
	v_cndmask_b32_e32 v13, v15, v13, vcc_lo
	v_cmp_lt_u32_e64 s2, 31, v4
	v_mad_u64_u32 v[16:17], null, 0xfc2757d1, v19, v[11:12]
	v_cndmask_b32_e64 v3, v13, v3, s1
	v_mov_b32_e32 v11, v17
	v_mad_u64_u32 v[17:18], null, 0x4e441529, v19, v[11:12]
	v_mov_b32_e32 v11, v18
	v_cndmask_b32_e64 v18, 0, 0xffffffe0, s2
	v_mad_u64_u32 v[11:12], null, 0xa2f9836e, v19, v[11:12]
	v_cndmask_b32_e32 v19, v17, v15, vcc_lo
	v_add_nc_u32_e32 v4, v18, v4
	v_cndmask_b32_e32 v11, v11, v16, vcc_lo
	v_cndmask_b32_e32 v12, v12, v17, vcc_lo
	;; [unrolled: 1-line block ×3, first 2 shown]
	v_sub_nc_u32_e32 v17, 32, v4
	v_cmp_eq_u32_e32 vcc_lo, 0, v4
	v_cndmask_b32_e64 v15, v11, v19, s1
	v_cndmask_b32_e64 v11, v12, v11, s1
	;; [unrolled: 1-line block ×8, first 2 shown]
	v_alignbit_b32 v18, v11, v15, v17
	v_alignbit_b32 v14, v15, v12, v17
	;; [unrolled: 1-line block ×3, first 2 shown]
	v_cndmask_b32_e32 v4, v18, v11, vcc_lo
	v_cndmask_b32_e32 v11, v14, v15, vcc_lo
	v_cndmask_b32_e32 v12, v16, v12, vcc_lo
	v_bfe_u32 v13, v4, 29, 1
	v_alignbit_b32 v14, v4, v11, 30
	v_alignbit_b32 v11, v11, v12, 30
	;; [unrolled: 1-line block ×3, first 2 shown]
	v_sub_nc_u32_e32 v15, 0, v13
	v_xor_b32_e32 v14, v14, v15
	v_xor_b32_e32 v11, v11, v15
	;; [unrolled: 1-line block ×3, first 2 shown]
	v_lshrrev_b32_e32 v15, 29, v4
	v_lshrrev_b32_e32 v4, 30, v4
	v_ffbh_u32_e32 v16, v14
	v_add_nc_u32_e32 v4, v13, v4
	v_min_u32_e32 v16, 32, v16
	v_sub_nc_u32_e32 v12, 31, v16
	v_lshlrev_b32_e32 v17, 23, v16
	v_alignbit_b32 v14, v14, v11, v12
	v_alignbit_b32 v3, v11, v3, v12
	v_lshlrev_b32_e32 v11, 31, v15
	v_alignbit_b32 v12, v14, v3, 9
	v_or_b32_e32 v15, 0.5, v11
	v_lshrrev_b32_e32 v14, 9, v14
	v_or_b32_e32 v11, 0x33000000, v11
	v_ffbh_u32_e32 v18, v12
	v_sub_nc_u32_e32 v15, v15, v17
	v_min_u32_e32 v17, 32, v18
	v_or_b32_e32 v14, v14, v15
	v_not_b32_e32 v15, v17
	v_mul_f32_e32 v18, 0x3fc90fda, v14
	v_add_lshl_u32 v16, v17, v16, 23
	v_alignbit_b32 v3, v12, v3, v15
	v_fma_f32 v12, 0x3fc90fda, v14, -v18
	v_sub_nc_u32_e32 v11, v11, v16
	v_lshrrev_b32_e32 v3, 9, v3
	v_fmamk_f32 v12, v14, 0x33a22168, v12
	v_or_b32_e32 v3, v11, v3
	v_fmac_f32_e32 v12, 0x3fc90fda, v3
	v_add_f32_e32 v3, v18, v12
.LBB11_56:
	s_andn2_saveexec_b32 s1, s10
; %bb.57:
	v_mul_f32_e64 v3, 0x3f22f983, |v5|
	v_rndne_f32_e32 v4, v3
	v_fma_f32 v3, 0xbfc90fda, v4, |v5|
	v_fmamk_f32 v3, v4, 0xb3a22168, v3
	v_fmamk_f32 v3, v4, 0xa7c234c4, v3
	v_cvt_i32_f32_e32 v4, v4
; %bb.58:
	s_or_b32 exec_lo, exec_lo, s1
	v_mul_f32_e32 v11, v3, v3
	s_mov_b32 s1, 0xb94c1982
	s_mov_b32 s2, 0x37d75334
	v_and_b32_e32 v14, 1, v4
	v_lshlrev_b32_e32 v4, 30, v4
	v_fmaak_f32 v12, s1, v11, 0x3c0881c4
	v_fmaak_f32 v13, s2, v11, 0xbab64f3b
	v_xor_b32_e32 v2, v2, v5
	v_cmp_eq_u32_e32 vcc_lo, 0, v14
	v_and_b32_e32 v4, 0x80000000, v4
	v_fmaak_f32 v12, v11, v12, 0xbe2aaa9d
	v_fmaak_f32 v13, v11, v13, 0x3d2aabf7
	v_mul_f32_e32 v12, v11, v12
	v_fmaak_f32 v13, v11, v13, 0xbf000004
	v_fmac_f32_e32 v3, v3, v12
	v_fma_f32 v11, v11, v13, 1.0
	v_cndmask_b32_e32 v3, v11, v3, vcc_lo
	v_cmp_class_f32_e64 vcc_lo, v5, 0x1f8
	v_xor3_b32 v2, v2, v4, v3
	v_cndmask_b32_e32 v2, 0x7fc00000, v2, vcc_lo
	v_div_scale_f32 v3, null, v5, v5, v2
	v_rcp_f32_e32 v4, v3
	v_fma_f32 v11, -v3, v4, 1.0
	v_fmac_f32_e32 v4, v11, v4
	v_div_scale_f32 v11, vcc_lo, v2, v5, v2
	v_mul_f32_e32 v12, v11, v4
	v_fma_f32 v13, -v3, v12, v11
	v_fmac_f32_e32 v12, v13, v4
	v_fma_f32 v3, -v3, v12, v11
	v_div_fmas_f32 v3, v3, v4, v12
	v_div_fixup_f32 v2, v3, v5, v2
                                        ; implicit-def: $vgpr5
.LBB11_59:
	s_andn2_saveexec_b32 s1, s7
	s_cbranch_execz .LBB11_61
; %bb.60:
	v_mul_f32_e32 v2, v5, v5
	s_mov_b32 s2, 0x2f309231
	v_fmaak_f32 v3, s2, v2, 0xb2d7322b
	v_fmaak_f32 v3, v2, v3, 0x3638ef1d
	;; [unrolled: 1-line block ×5, first 2 shown]
	v_fma_f32 v2, v2, v3, 1.0
.LBB11_61:
	s_or_b32 exec_lo, exec_lo, s1
.LBB11_62:
	s_or_b32 exec_lo, exec_lo, s5
	v_mov_b32_e32 v5, v1
	v_mov_b32_e32 v3, v1
	;; [unrolled: 1-line block ×7, first 2 shown]
.LBB11_63:
	s_or_b32 exec_lo, exec_lo, s3
	s_mov_b32 s3, exec_lo
	v_cmpx_gt_i32_e64 s6, v8
	s_cbranch_execz .LBB11_75
; %bb.64:
	v_mov_b32_e32 v2, 0
	s_mov_b32 s5, exec_lo
	s_waitcnt vmcnt(0)
	v_cmpx_neq_f32_e64 0x7f800000, |v10|
	s_cbranch_execz .LBB11_74
; %bb.65:
	s_mov_b32 s2, exec_lo
	v_cmpx_nlt_f32_e64 |v10|, 0.5
	s_xor_b32 s7, exec_lo, s2
	s_cbranch_execz .LBB11_71
; %bb.66:
	v_and_b32_e32 v2, 0x7fffffff, v10
                                        ; implicit-def: $vgpr11
                                        ; implicit-def: $vgpr5
	s_mov_b32 s2, exec_lo
	v_cmpx_ngt_f32_e64 0x48000000, |v10|
	s_xor_b32 s10, exec_lo, s2
	s_cbranch_execz .LBB11_68
; %bb.67:
	s_mov_b32 s1, 0x7fffff
	v_mov_b32_e32 v13, 0
	v_and_or_b32 v5, v2, s1, 0x800000
	v_lshrrev_b32_e32 v18, 23, v2
	v_mad_u64_u32 v[11:12], null, 0xfe5163ab, v5, 0
	v_add_nc_u32_e32 v19, 0xffffff88, v18
	v_cmp_lt_u32_e32 vcc_lo, 63, v19
	v_mad_u64_u32 v[14:15], null, 0x3c439041, v5, v[12:13]
	v_cndmask_b32_e64 v20, 0, 0xffffffc0, vcc_lo
	v_mov_b32_e32 v12, v15
	v_add_nc_u32_e32 v20, v20, v19
	v_mad_u64_u32 v[15:16], null, 0xdb629599, v5, v[12:13]
	v_cmp_lt_u32_e64 s1, 31, v20
	v_cndmask_b32_e64 v21, 0, 0xffffffe0, s1
	v_mov_b32_e32 v12, v16
	v_cndmask_b32_e32 v11, v15, v11, vcc_lo
	v_mad_u64_u32 v[16:17], null, 0xf534ddc0, v5, v[12:13]
	v_mov_b32_e32 v12, v17
	v_cndmask_b32_e32 v14, v16, v14, vcc_lo
	v_mad_u64_u32 v[17:18], null, 0xfc2757d1, v5, v[12:13]
	v_cndmask_b32_e64 v11, v14, v11, s1
	v_mov_b32_e32 v12, v18
	v_mad_u64_u32 v[18:19], null, 0x4e441529, v5, v[12:13]
	v_mov_b32_e32 v12, v19
	v_add_nc_u32_e32 v19, v21, v20
	v_cndmask_b32_e32 v20, v18, v16, vcc_lo
	v_mad_u64_u32 v[12:13], null, 0xa2f9836e, v5, v[12:13]
	v_cmp_lt_u32_e64 s2, 31, v19
	v_cndmask_b32_e64 v5, 0, 0xffffffe0, s2
	v_cndmask_b32_e32 v12, v12, v17, vcc_lo
	v_cndmask_b32_e32 v13, v13, v18, vcc_lo
	;; [unrolled: 1-line block ×3, first 2 shown]
	v_add_nc_u32_e32 v5, v5, v19
	v_cndmask_b32_e64 v16, v12, v20, s1
	v_cndmask_b32_e64 v12, v13, v12, s1
	;; [unrolled: 1-line block ×4, first 2 shown]
	v_sub_nc_u32_e32 v18, 32, v5
	v_cmp_eq_u32_e32 vcc_lo, 0, v5
	v_cndmask_b32_e64 v12, v12, v16, s2
	v_cndmask_b32_e64 v16, v16, v13, s2
	;; [unrolled: 1-line block ×4, first 2 shown]
	v_alignbit_b32 v19, v12, v16, v18
	v_alignbit_b32 v15, v16, v13, v18
	;; [unrolled: 1-line block ×3, first 2 shown]
	v_cndmask_b32_e32 v5, v19, v12, vcc_lo
	v_cndmask_b32_e32 v12, v15, v16, vcc_lo
	;; [unrolled: 1-line block ×3, first 2 shown]
	v_bfe_u32 v14, v5, 29, 1
	v_alignbit_b32 v15, v5, v12, 30
	v_alignbit_b32 v12, v12, v13, 30
	;; [unrolled: 1-line block ×3, first 2 shown]
	v_sub_nc_u32_e32 v16, 0, v14
	v_xor_b32_e32 v15, v15, v16
	v_xor_b32_e32 v12, v12, v16
	;; [unrolled: 1-line block ×3, first 2 shown]
	v_lshrrev_b32_e32 v16, 29, v5
	v_ffbh_u32_e32 v17, v15
	v_min_u32_e32 v17, 32, v17
	v_sub_nc_u32_e32 v13, 31, v17
	v_lshlrev_b32_e32 v18, 23, v17
	v_alignbit_b32 v15, v15, v12, v13
	v_alignbit_b32 v11, v12, v11, v13
	v_lshlrev_b32_e32 v12, 31, v16
	v_alignbit_b32 v13, v15, v11, 9
	v_or_b32_e32 v16, 0.5, v12
	v_lshrrev_b32_e32 v15, 9, v15
	v_or_b32_e32 v12, 0x33000000, v12
	v_ffbh_u32_e32 v19, v13
	v_sub_nc_u32_e32 v16, v16, v18
	v_min_u32_e32 v18, 32, v19
	v_or_b32_e32 v15, v15, v16
	v_not_b32_e32 v16, v18
	v_mul_f32_e32 v19, 0x3fc90fda, v15
	v_add_lshl_u32 v17, v18, v17, 23
	v_alignbit_b32 v11, v13, v11, v16
	v_fma_f32 v13, 0x3fc90fda, v15, -v19
	v_sub_nc_u32_e32 v12, v12, v17
	v_lshrrev_b32_e32 v11, 9, v11
	v_fmamk_f32 v13, v15, 0x33a22168, v13
	v_or_b32_e32 v11, v12, v11
	v_fmac_f32_e32 v13, 0x3fc90fda, v11
	v_lshrrev_b32_e32 v11, 30, v5
	v_add_f32_e32 v5, v19, v13
	v_add_nc_u32_e32 v11, v14, v11
.LBB11_68:
	s_andn2_saveexec_b32 s1, s10
; %bb.69:
	v_mul_f32_e64 v5, 0x3f22f983, |v10|
	v_rndne_f32_e32 v11, v5
	v_fma_f32 v5, 0xbfc90fda, v11, |v10|
	v_fmamk_f32 v5, v11, 0xb3a22168, v5
	v_fmamk_f32 v5, v11, 0xa7c234c4, v5
	v_cvt_i32_f32_e32 v11, v11
; %bb.70:
	s_or_b32 exec_lo, exec_lo, s1
	v_mul_f32_e32 v12, v5, v5
	s_mov_b32 s1, 0xb94c1982
	s_mov_b32 s2, 0x37d75334
	v_and_b32_e32 v15, 1, v11
	v_lshlrev_b32_e32 v11, 30, v11
	v_fmaak_f32 v13, s1, v12, 0x3c0881c4
	v_fmaak_f32 v14, s2, v12, 0xbab64f3b
	v_xor_b32_e32 v2, v2, v10
	v_cmp_eq_u32_e32 vcc_lo, 0, v15
	v_and_b32_e32 v11, 0x80000000, v11
	v_fmaak_f32 v13, v12, v13, 0xbe2aaa9d
	v_fmaak_f32 v14, v12, v14, 0x3d2aabf7
	v_mul_f32_e32 v13, v12, v13
	v_fmaak_f32 v14, v12, v14, 0xbf000004
	v_fmac_f32_e32 v5, v5, v13
	v_fma_f32 v12, v12, v14, 1.0
	v_cndmask_b32_e32 v5, v12, v5, vcc_lo
	v_cmp_class_f32_e64 vcc_lo, v10, 0x1f8
	v_xor3_b32 v2, v2, v11, v5
	v_cndmask_b32_e32 v2, 0x7fc00000, v2, vcc_lo
	v_div_scale_f32 v5, null, v10, v10, v2
	v_rcp_f32_e32 v11, v5
	v_fma_f32 v12, -v5, v11, 1.0
	v_fmac_f32_e32 v11, v12, v11
	v_div_scale_f32 v12, vcc_lo, v2, v10, v2
	v_mul_f32_e32 v13, v12, v11
	v_fma_f32 v14, -v5, v13, v12
	v_fmac_f32_e32 v13, v14, v11
	v_fma_f32 v5, -v5, v13, v12
	v_div_fmas_f32 v5, v5, v11, v13
	v_div_fixup_f32 v2, v5, v10, v2
                                        ; implicit-def: $vgpr10
.LBB11_71:
	s_andn2_saveexec_b32 s1, s7
	s_cbranch_execz .LBB11_73
; %bb.72:
	v_mul_f32_e32 v2, v10, v10
	s_mov_b32 s2, 0x2f309231
	v_fmaak_f32 v5, s2, v2, 0xb2d7322b
	v_fmaak_f32 v5, v2, v5, 0x3638ef1d
	;; [unrolled: 1-line block ×5, first 2 shown]
	v_fma_f32 v2, v2, v5, 1.0
.LBB11_73:
	s_or_b32 exec_lo, exec_lo, s1
.LBB11_74:
	s_or_b32 exec_lo, exec_lo, s5
.LBB11_75:
	s_or_b32 exec_lo, exec_lo, s3
	s_waitcnt vmcnt(0)
	v_or_b32_e32 v5, 0x200, v0
	s_mov_b32 s3, exec_lo
	v_cmpx_gt_i32_e64 s6, v5
	s_cbranch_execz .LBB11_87
; %bb.76:
	v_mov_b32_e32 v3, 0
	s_mov_b32 s5, exec_lo
	v_cmpx_neq_f32_e64 0x7f800000, |v9|
	s_cbranch_execz .LBB11_86
; %bb.77:
	s_mov_b32 s2, exec_lo
	v_cmpx_nlt_f32_e64 |v9|, 0.5
	s_xor_b32 s7, exec_lo, s2
	s_cbranch_execz .LBB11_83
; %bb.78:
	v_and_b32_e32 v3, 0x7fffffff, v9
                                        ; implicit-def: $vgpr10
                                        ; implicit-def: $vgpr5
	s_mov_b32 s2, exec_lo
	v_cmpx_ngt_f32_e64 0x48000000, |v9|
	s_xor_b32 s10, exec_lo, s2
	s_cbranch_execz .LBB11_80
; %bb.79:
	s_mov_b32 s1, 0x7fffff
	v_mov_b32_e32 v12, 0
	v_and_or_b32 v5, v3, s1, 0x800000
	v_lshrrev_b32_e32 v17, 23, v3
	v_mad_u64_u32 v[10:11], null, 0xfe5163ab, v5, 0
	v_add_nc_u32_e32 v18, 0xffffff88, v17
	v_cmp_lt_u32_e32 vcc_lo, 63, v18
	v_mad_u64_u32 v[13:14], null, 0x3c439041, v5, v[11:12]
	v_cndmask_b32_e64 v19, 0, 0xffffffc0, vcc_lo
	v_mov_b32_e32 v11, v14
	v_add_nc_u32_e32 v19, v19, v18
	v_mad_u64_u32 v[14:15], null, 0xdb629599, v5, v[11:12]
	v_cmp_lt_u32_e64 s1, 31, v19
	v_cndmask_b32_e64 v20, 0, 0xffffffe0, s1
	v_mov_b32_e32 v11, v15
	v_cndmask_b32_e32 v10, v14, v10, vcc_lo
	v_mad_u64_u32 v[15:16], null, 0xf534ddc0, v5, v[11:12]
	v_mov_b32_e32 v11, v16
	v_cndmask_b32_e32 v13, v15, v13, vcc_lo
	v_mad_u64_u32 v[16:17], null, 0xfc2757d1, v5, v[11:12]
	v_cndmask_b32_e64 v10, v13, v10, s1
	v_mov_b32_e32 v11, v17
	v_mad_u64_u32 v[17:18], null, 0x4e441529, v5, v[11:12]
	v_mov_b32_e32 v11, v18
	v_add_nc_u32_e32 v18, v20, v19
	v_cndmask_b32_e32 v19, v17, v15, vcc_lo
	v_mad_u64_u32 v[11:12], null, 0xa2f9836e, v5, v[11:12]
	v_cmp_lt_u32_e64 s2, 31, v18
	v_cndmask_b32_e64 v5, 0, 0xffffffe0, s2
	v_cndmask_b32_e32 v11, v11, v16, vcc_lo
	v_cndmask_b32_e32 v12, v12, v17, vcc_lo
	;; [unrolled: 1-line block ×3, first 2 shown]
	v_add_nc_u32_e32 v5, v5, v18
	v_cndmask_b32_e64 v15, v11, v19, s1
	v_cndmask_b32_e64 v11, v12, v11, s1
	v_cndmask_b32_e64 v12, v19, v16, s1
	v_cndmask_b32_e64 v16, v16, v13, s1
	v_sub_nc_u32_e32 v17, 32, v5
	v_cmp_eq_u32_e32 vcc_lo, 0, v5
	v_cndmask_b32_e64 v11, v11, v15, s2
	v_cndmask_b32_e64 v15, v15, v12, s2
	;; [unrolled: 1-line block ×4, first 2 shown]
	v_alignbit_b32 v18, v11, v15, v17
	v_alignbit_b32 v14, v15, v12, v17
	v_alignbit_b32 v16, v12, v10, v17
	v_cndmask_b32_e32 v5, v18, v11, vcc_lo
	v_cndmask_b32_e32 v11, v14, v15, vcc_lo
	;; [unrolled: 1-line block ×3, first 2 shown]
	v_bfe_u32 v13, v5, 29, 1
	v_alignbit_b32 v14, v5, v11, 30
	v_alignbit_b32 v11, v11, v12, 30
	;; [unrolled: 1-line block ×3, first 2 shown]
	v_sub_nc_u32_e32 v15, 0, v13
	v_xor_b32_e32 v14, v14, v15
	v_xor_b32_e32 v11, v11, v15
	;; [unrolled: 1-line block ×3, first 2 shown]
	v_lshrrev_b32_e32 v15, 29, v5
	v_ffbh_u32_e32 v16, v14
	v_min_u32_e32 v16, 32, v16
	v_sub_nc_u32_e32 v12, 31, v16
	v_lshlrev_b32_e32 v17, 23, v16
	v_alignbit_b32 v14, v14, v11, v12
	v_alignbit_b32 v10, v11, v10, v12
	v_lshlrev_b32_e32 v11, 31, v15
	v_alignbit_b32 v12, v14, v10, 9
	v_or_b32_e32 v15, 0.5, v11
	v_lshrrev_b32_e32 v14, 9, v14
	v_or_b32_e32 v11, 0x33000000, v11
	v_ffbh_u32_e32 v18, v12
	v_sub_nc_u32_e32 v15, v15, v17
	v_min_u32_e32 v17, 32, v18
	v_or_b32_e32 v14, v14, v15
	v_not_b32_e32 v15, v17
	v_mul_f32_e32 v18, 0x3fc90fda, v14
	v_add_lshl_u32 v16, v17, v16, 23
	v_alignbit_b32 v10, v12, v10, v15
	v_fma_f32 v12, 0x3fc90fda, v14, -v18
	v_sub_nc_u32_e32 v11, v11, v16
	v_lshrrev_b32_e32 v10, 9, v10
	v_fmamk_f32 v12, v14, 0x33a22168, v12
	v_or_b32_e32 v10, v11, v10
	v_fmac_f32_e32 v12, 0x3fc90fda, v10
	v_lshrrev_b32_e32 v10, 30, v5
	v_add_f32_e32 v5, v18, v12
	v_add_nc_u32_e32 v10, v13, v10
.LBB11_80:
	s_andn2_saveexec_b32 s1, s10
; %bb.81:
	v_mul_f32_e64 v5, 0x3f22f983, |v9|
	v_rndne_f32_e32 v10, v5
	v_fma_f32 v5, 0xbfc90fda, v10, |v9|
	v_fmamk_f32 v5, v10, 0xb3a22168, v5
	v_fmamk_f32 v5, v10, 0xa7c234c4, v5
	v_cvt_i32_f32_e32 v10, v10
; %bb.82:
	s_or_b32 exec_lo, exec_lo, s1
	v_mul_f32_e32 v11, v5, v5
	s_mov_b32 s1, 0xb94c1982
	s_mov_b32 s2, 0x37d75334
	v_and_b32_e32 v14, 1, v10
	v_lshlrev_b32_e32 v10, 30, v10
	v_fmaak_f32 v12, s1, v11, 0x3c0881c4
	v_fmaak_f32 v13, s2, v11, 0xbab64f3b
	v_xor_b32_e32 v3, v3, v9
	v_cmp_eq_u32_e32 vcc_lo, 0, v14
	v_and_b32_e32 v10, 0x80000000, v10
	v_fmaak_f32 v12, v11, v12, 0xbe2aaa9d
	v_fmaak_f32 v13, v11, v13, 0x3d2aabf7
	v_mul_f32_e32 v12, v11, v12
	v_fmaak_f32 v13, v11, v13, 0xbf000004
	v_fmac_f32_e32 v5, v5, v12
	v_fma_f32 v11, v11, v13, 1.0
	v_cndmask_b32_e32 v5, v11, v5, vcc_lo
	v_cmp_class_f32_e64 vcc_lo, v9, 0x1f8
	v_xor3_b32 v3, v3, v10, v5
	v_cndmask_b32_e32 v3, 0x7fc00000, v3, vcc_lo
	v_div_scale_f32 v5, null, v9, v9, v3
	v_rcp_f32_e32 v10, v5
	v_fma_f32 v11, -v5, v10, 1.0
	v_fmac_f32_e32 v10, v11, v10
	v_div_scale_f32 v11, vcc_lo, v3, v9, v3
	v_mul_f32_e32 v12, v11, v10
	v_fma_f32 v13, -v5, v12, v11
	v_fmac_f32_e32 v12, v13, v10
	v_fma_f32 v5, -v5, v12, v11
	v_div_fmas_f32 v5, v5, v10, v12
	v_div_fixup_f32 v3, v5, v9, v3
                                        ; implicit-def: $vgpr9
.LBB11_83:
	s_andn2_saveexec_b32 s1, s7
	s_cbranch_execz .LBB11_85
; %bb.84:
	v_mul_f32_e32 v3, v9, v9
	s_mov_b32 s2, 0x2f309231
	v_fmaak_f32 v5, s2, v3, 0xb2d7322b
	v_fmaak_f32 v5, v3, v5, 0x3638ef1d
	;; [unrolled: 1-line block ×5, first 2 shown]
	v_fma_f32 v3, v3, v5, 1.0
.LBB11_85:
	s_or_b32 exec_lo, exec_lo, s1
.LBB11_86:
	s_or_b32 exec_lo, exec_lo, s5
.LBB11_87:
	s_or_b32 exec_lo, exec_lo, s3
	v_or_b32_e32 v5, 0x300, v0
	s_mov_b32 s3, exec_lo
	v_cmpx_gt_i32_e64 s6, v5
	s_cbranch_execnz .LBB11_94
; %bb.88:
	s_or_b32 exec_lo, exec_lo, s3
	s_and_saveexec_b32 s1, s0
	s_xor_b32 s0, exec_lo, s1
	s_cbranch_execnz .LBB11_105
.LBB11_89:
	s_or_b32 exec_lo, exec_lo, s0
	s_mov_b32 s0, exec_lo
	v_cmpx_gt_i32_e64 s6, v0
	s_cbranch_execnz .LBB11_106
.LBB11_90:
	s_or_b32 exec_lo, exec_lo, s0
	s_mov_b32 s0, exec_lo
	v_cmpx_gt_i32_e64 s6, v0
	s_cbranch_execnz .LBB11_107
.LBB11_91:
	s_or_b32 exec_lo, exec_lo, s0
	s_mov_b32 s0, exec_lo
	v_cmpx_gt_i32_e64 s6, v0
	s_cbranch_execz .LBB11_93
.LBB11_92:
	v_add_nc_u32_e32 v0, s4, v0
	v_mov_b32_e32 v1, 0
	v_lshlrev_b64 v[0:1], 2, v[0:1]
	v_add_co_u32 v0, vcc_lo, s8, v0
	v_add_co_ci_u32_e64 v1, null, s9, v1, vcc_lo
	global_store_dword v[0:1], v4, off
.LBB11_93:
	s_endpgm
.LBB11_94:
	v_mov_b32_e32 v4, 0
	s_mov_b32 s5, exec_lo
	v_cmpx_neq_f32_e64 0x7f800000, |v7|
	s_cbranch_execz .LBB11_104
; %bb.95:
	s_mov_b32 s2, exec_lo
	v_cmpx_nlt_f32_e64 |v7|, 0.5
	s_xor_b32 s7, exec_lo, s2
	s_cbranch_execz .LBB11_101
; %bb.96:
	v_and_b32_e32 v4, 0x7fffffff, v7
                                        ; implicit-def: $vgpr9
                                        ; implicit-def: $vgpr5
	s_mov_b32 s2, exec_lo
	v_cmpx_ngt_f32_e64 0x48000000, |v7|
	s_xor_b32 s10, exec_lo, s2
	s_cbranch_execz .LBB11_98
; %bb.97:
	s_mov_b32 s1, 0x7fffff
	v_mov_b32_e32 v11, 0
	v_and_or_b32 v5, v4, s1, 0x800000
	v_lshrrev_b32_e32 v16, 23, v4
	v_mad_u64_u32 v[9:10], null, 0xfe5163ab, v5, 0
	v_add_nc_u32_e32 v17, 0xffffff88, v16
	v_cmp_lt_u32_e32 vcc_lo, 63, v17
	v_mad_u64_u32 v[12:13], null, 0x3c439041, v5, v[10:11]
	v_cndmask_b32_e64 v18, 0, 0xffffffc0, vcc_lo
	v_mov_b32_e32 v10, v13
	v_add_nc_u32_e32 v18, v18, v17
	v_mad_u64_u32 v[13:14], null, 0xdb629599, v5, v[10:11]
	v_cmp_lt_u32_e64 s1, 31, v18
	v_cndmask_b32_e64 v19, 0, 0xffffffe0, s1
	v_mov_b32_e32 v10, v14
	v_cndmask_b32_e32 v9, v13, v9, vcc_lo
	v_mad_u64_u32 v[14:15], null, 0xf534ddc0, v5, v[10:11]
	v_mov_b32_e32 v10, v15
	v_cndmask_b32_e32 v12, v14, v12, vcc_lo
	v_mad_u64_u32 v[15:16], null, 0xfc2757d1, v5, v[10:11]
	v_cndmask_b32_e64 v9, v12, v9, s1
	v_mov_b32_e32 v10, v16
	v_mad_u64_u32 v[16:17], null, 0x4e441529, v5, v[10:11]
	v_mov_b32_e32 v10, v17
	v_add_nc_u32_e32 v17, v19, v18
	v_cndmask_b32_e32 v18, v16, v14, vcc_lo
	v_mad_u64_u32 v[10:11], null, 0xa2f9836e, v5, v[10:11]
	v_cmp_lt_u32_e64 s2, 31, v17
	v_cndmask_b32_e64 v5, 0, 0xffffffe0, s2
	v_cndmask_b32_e32 v10, v10, v15, vcc_lo
	v_cndmask_b32_e32 v11, v11, v16, vcc_lo
	;; [unrolled: 1-line block ×3, first 2 shown]
	v_add_nc_u32_e32 v5, v5, v17
	v_cndmask_b32_e64 v14, v10, v18, s1
	v_cndmask_b32_e64 v10, v11, v10, s1
	;; [unrolled: 1-line block ×4, first 2 shown]
	v_sub_nc_u32_e32 v16, 32, v5
	v_cmp_eq_u32_e32 vcc_lo, 0, v5
	v_cndmask_b32_e64 v10, v10, v14, s2
	v_cndmask_b32_e64 v14, v14, v11, s2
	;; [unrolled: 1-line block ×4, first 2 shown]
	v_alignbit_b32 v17, v10, v14, v16
	v_alignbit_b32 v13, v14, v11, v16
	;; [unrolled: 1-line block ×3, first 2 shown]
	v_cndmask_b32_e32 v5, v17, v10, vcc_lo
	v_cndmask_b32_e32 v10, v13, v14, vcc_lo
	;; [unrolled: 1-line block ×3, first 2 shown]
	v_bfe_u32 v12, v5, 29, 1
	v_alignbit_b32 v13, v5, v10, 30
	v_alignbit_b32 v10, v10, v11, 30
	;; [unrolled: 1-line block ×3, first 2 shown]
	v_sub_nc_u32_e32 v14, 0, v12
	v_xor_b32_e32 v13, v13, v14
	v_xor_b32_e32 v10, v10, v14
	;; [unrolled: 1-line block ×3, first 2 shown]
	v_lshrrev_b32_e32 v14, 29, v5
	v_ffbh_u32_e32 v15, v13
	v_min_u32_e32 v15, 32, v15
	v_sub_nc_u32_e32 v11, 31, v15
	v_lshlrev_b32_e32 v16, 23, v15
	v_alignbit_b32 v13, v13, v10, v11
	v_alignbit_b32 v9, v10, v9, v11
	v_lshlrev_b32_e32 v10, 31, v14
	v_alignbit_b32 v11, v13, v9, 9
	v_or_b32_e32 v14, 0.5, v10
	v_lshrrev_b32_e32 v13, 9, v13
	v_or_b32_e32 v10, 0x33000000, v10
	v_ffbh_u32_e32 v17, v11
	v_sub_nc_u32_e32 v14, v14, v16
	v_min_u32_e32 v16, 32, v17
	v_or_b32_e32 v13, v13, v14
	v_not_b32_e32 v14, v16
	v_mul_f32_e32 v17, 0x3fc90fda, v13
	v_add_lshl_u32 v15, v16, v15, 23
	v_alignbit_b32 v9, v11, v9, v14
	v_fma_f32 v11, 0x3fc90fda, v13, -v17
	v_sub_nc_u32_e32 v10, v10, v15
	v_lshrrev_b32_e32 v9, 9, v9
	v_fmamk_f32 v11, v13, 0x33a22168, v11
	v_or_b32_e32 v9, v10, v9
	v_fmac_f32_e32 v11, 0x3fc90fda, v9
	v_lshrrev_b32_e32 v9, 30, v5
	v_add_f32_e32 v5, v17, v11
	v_add_nc_u32_e32 v9, v12, v9
.LBB11_98:
	s_andn2_saveexec_b32 s1, s10
; %bb.99:
	v_mul_f32_e64 v5, 0x3f22f983, |v7|
	v_rndne_f32_e32 v9, v5
	v_fma_f32 v5, 0xbfc90fda, v9, |v7|
	v_fmamk_f32 v5, v9, 0xb3a22168, v5
	v_fmamk_f32 v5, v9, 0xa7c234c4, v5
	v_cvt_i32_f32_e32 v9, v9
; %bb.100:
	s_or_b32 exec_lo, exec_lo, s1
	v_mul_f32_e32 v10, v5, v5
	s_mov_b32 s1, 0xb94c1982
	s_mov_b32 s2, 0x37d75334
	v_and_b32_e32 v13, 1, v9
	v_lshlrev_b32_e32 v9, 30, v9
	v_fmaak_f32 v11, s1, v10, 0x3c0881c4
	v_fmaak_f32 v12, s2, v10, 0xbab64f3b
	v_xor_b32_e32 v4, v4, v7
	v_cmp_eq_u32_e32 vcc_lo, 0, v13
	v_and_b32_e32 v9, 0x80000000, v9
	v_fmaak_f32 v11, v10, v11, 0xbe2aaa9d
	v_fmaak_f32 v12, v10, v12, 0x3d2aabf7
	v_mul_f32_e32 v11, v10, v11
	v_fmaak_f32 v12, v10, v12, 0xbf000004
	v_fmac_f32_e32 v5, v5, v11
	v_fma_f32 v10, v10, v12, 1.0
	v_cndmask_b32_e32 v5, v10, v5, vcc_lo
	v_cmp_class_f32_e64 vcc_lo, v7, 0x1f8
	v_xor3_b32 v4, v4, v9, v5
	v_cndmask_b32_e32 v4, 0x7fc00000, v4, vcc_lo
	v_div_scale_f32 v5, null, v7, v7, v4
	v_rcp_f32_e32 v9, v5
	v_fma_f32 v10, -v5, v9, 1.0
	v_fmac_f32_e32 v9, v10, v9
	v_div_scale_f32 v10, vcc_lo, v4, v7, v4
	v_mul_f32_e32 v11, v10, v9
	v_fma_f32 v12, -v5, v11, v10
	v_fmac_f32_e32 v11, v12, v9
	v_fma_f32 v5, -v5, v11, v10
	v_div_fmas_f32 v5, v5, v9, v11
	v_div_fixup_f32 v4, v5, v7, v4
                                        ; implicit-def: $vgpr7
.LBB11_101:
	s_andn2_saveexec_b32 s1, s7
	s_cbranch_execz .LBB11_103
; %bb.102:
	v_mul_f32_e32 v4, v7, v7
	s_mov_b32 s2, 0x2f309231
	v_fmaak_f32 v5, s2, v4, 0xb2d7322b
	v_fmaak_f32 v5, v4, v5, 0x3638ef1d
	;; [unrolled: 1-line block ×5, first 2 shown]
	v_fma_f32 v4, v4, v5, 1.0
.LBB11_103:
	s_or_b32 exec_lo, exec_lo, s1
.LBB11_104:
	s_or_b32 exec_lo, exec_lo, s5
	s_or_b32 exec_lo, exec_lo, s3
	s_and_saveexec_b32 s1, s0
	s_xor_b32 s0, exec_lo, s1
	s_cbranch_execz .LBB11_89
.LBB11_105:
	v_mov_b32_e32 v7, 0
	v_mov_b32_e32 v0, v8
	v_lshlrev_b64 v[5:6], 2, v[6:7]
	v_add_co_u32 v5, vcc_lo, s8, v5
	v_add_co_ci_u32_e64 v6, null, s9, v6, vcc_lo
	global_store_dword v[5:6], v1, off
	s_or_b32 exec_lo, exec_lo, s0
	s_mov_b32 s0, exec_lo
	v_cmpx_gt_i32_e64 s6, v0
	s_cbranch_execz .LBB11_90
.LBB11_106:
	v_add_nc_u32_e32 v5, s4, v0
	v_mov_b32_e32 v6, 0
	v_add_nc_u32_e32 v0, 0x100, v0
	v_lshlrev_b64 v[5:6], 2, v[5:6]
	v_add_co_u32 v5, vcc_lo, s8, v5
	v_add_co_ci_u32_e64 v6, null, s9, v6, vcc_lo
	global_store_dword v[5:6], v2, off
	s_or_b32 exec_lo, exec_lo, s0
	s_mov_b32 s0, exec_lo
	v_cmpx_gt_i32_e64 s6, v0
	s_cbranch_execz .LBB11_91
.LBB11_107:
	v_add_nc_u32_e32 v1, s4, v0
	v_mov_b32_e32 v2, 0
	v_add_nc_u32_e32 v0, 0x100, v0
	v_lshlrev_b64 v[1:2], 2, v[1:2]
	v_add_co_u32 v1, vcc_lo, s8, v1
	v_add_co_ci_u32_e64 v2, null, s9, v2, vcc_lo
	global_store_dword v[1:2], v3, off
	s_or_b32 exec_lo, exec_lo, s0
	s_mov_b32 s0, exec_lo
	v_cmpx_gt_i32_e64 s6, v0
	s_cbranch_execnz .LBB11_92
	s_branch .LBB11_93
	.section	.rodata,"a",@progbits
	.p2align	6, 0x0
	.amdhsa_kernel _ZN2at6native29vectorized_elementwise_kernelILi2EZZZNS0_12_GLOBAL__N_131spherical_bessel_j0_kernel_cudaERNS_18TensorIteratorBaseEENKUlvE_clEvENKUlvE0_clEvEUlfE_St5arrayIPcLm2EEEEviT0_T1_
		.amdhsa_group_segment_fixed_size 0
		.amdhsa_private_segment_fixed_size 0
		.amdhsa_kernarg_size 24
		.amdhsa_user_sgpr_count 6
		.amdhsa_user_sgpr_private_segment_buffer 1
		.amdhsa_user_sgpr_dispatch_ptr 0
		.amdhsa_user_sgpr_queue_ptr 0
		.amdhsa_user_sgpr_kernarg_segment_ptr 1
		.amdhsa_user_sgpr_dispatch_id 0
		.amdhsa_user_sgpr_flat_scratch_init 0
		.amdhsa_user_sgpr_private_segment_size 0
		.amdhsa_wavefront_size32 1
		.amdhsa_uses_dynamic_stack 0
		.amdhsa_system_sgpr_private_segment_wavefront_offset 0
		.amdhsa_system_sgpr_workgroup_id_x 1
		.amdhsa_system_sgpr_workgroup_id_y 0
		.amdhsa_system_sgpr_workgroup_id_z 0
		.amdhsa_system_sgpr_workgroup_info 0
		.amdhsa_system_vgpr_workitem_id 0
		.amdhsa_next_free_vgpr 22
		.amdhsa_next_free_sgpr 13
		.amdhsa_reserve_vcc 1
		.amdhsa_reserve_flat_scratch 0
		.amdhsa_float_round_mode_32 0
		.amdhsa_float_round_mode_16_64 0
		.amdhsa_float_denorm_mode_32 3
		.amdhsa_float_denorm_mode_16_64 3
		.amdhsa_dx10_clamp 1
		.amdhsa_ieee_mode 1
		.amdhsa_fp16_overflow 0
		.amdhsa_workgroup_processor_mode 1
		.amdhsa_memory_ordered 1
		.amdhsa_forward_progress 1
		.amdhsa_shared_vgpr_count 0
		.amdhsa_exception_fp_ieee_invalid_op 0
		.amdhsa_exception_fp_denorm_src 0
		.amdhsa_exception_fp_ieee_div_zero 0
		.amdhsa_exception_fp_ieee_overflow 0
		.amdhsa_exception_fp_ieee_underflow 0
		.amdhsa_exception_fp_ieee_inexact 0
		.amdhsa_exception_int_div_zero 0
	.end_amdhsa_kernel
	.section	.text._ZN2at6native29vectorized_elementwise_kernelILi2EZZZNS0_12_GLOBAL__N_131spherical_bessel_j0_kernel_cudaERNS_18TensorIteratorBaseEENKUlvE_clEvENKUlvE0_clEvEUlfE_St5arrayIPcLm2EEEEviT0_T1_,"axG",@progbits,_ZN2at6native29vectorized_elementwise_kernelILi2EZZZNS0_12_GLOBAL__N_131spherical_bessel_j0_kernel_cudaERNS_18TensorIteratorBaseEENKUlvE_clEvENKUlvE0_clEvEUlfE_St5arrayIPcLm2EEEEviT0_T1_,comdat
.Lfunc_end11:
	.size	_ZN2at6native29vectorized_elementwise_kernelILi2EZZZNS0_12_GLOBAL__N_131spherical_bessel_j0_kernel_cudaERNS_18TensorIteratorBaseEENKUlvE_clEvENKUlvE0_clEvEUlfE_St5arrayIPcLm2EEEEviT0_T1_, .Lfunc_end11-_ZN2at6native29vectorized_elementwise_kernelILi2EZZZNS0_12_GLOBAL__N_131spherical_bessel_j0_kernel_cudaERNS_18TensorIteratorBaseEENKUlvE_clEvENKUlvE0_clEvEUlfE_St5arrayIPcLm2EEEEviT0_T1_
                                        ; -- End function
	.set _ZN2at6native29vectorized_elementwise_kernelILi2EZZZNS0_12_GLOBAL__N_131spherical_bessel_j0_kernel_cudaERNS_18TensorIteratorBaseEENKUlvE_clEvENKUlvE0_clEvEUlfE_St5arrayIPcLm2EEEEviT0_T1_.num_vgpr, 22
	.set _ZN2at6native29vectorized_elementwise_kernelILi2EZZZNS0_12_GLOBAL__N_131spherical_bessel_j0_kernel_cudaERNS_18TensorIteratorBaseEENKUlvE_clEvENKUlvE0_clEvEUlfE_St5arrayIPcLm2EEEEviT0_T1_.num_agpr, 0
	.set _ZN2at6native29vectorized_elementwise_kernelILi2EZZZNS0_12_GLOBAL__N_131spherical_bessel_j0_kernel_cudaERNS_18TensorIteratorBaseEENKUlvE_clEvENKUlvE0_clEvEUlfE_St5arrayIPcLm2EEEEviT0_T1_.numbered_sgpr, 13
	.set _ZN2at6native29vectorized_elementwise_kernelILi2EZZZNS0_12_GLOBAL__N_131spherical_bessel_j0_kernel_cudaERNS_18TensorIteratorBaseEENKUlvE_clEvENKUlvE0_clEvEUlfE_St5arrayIPcLm2EEEEviT0_T1_.num_named_barrier, 0
	.set _ZN2at6native29vectorized_elementwise_kernelILi2EZZZNS0_12_GLOBAL__N_131spherical_bessel_j0_kernel_cudaERNS_18TensorIteratorBaseEENKUlvE_clEvENKUlvE0_clEvEUlfE_St5arrayIPcLm2EEEEviT0_T1_.private_seg_size, 0
	.set _ZN2at6native29vectorized_elementwise_kernelILi2EZZZNS0_12_GLOBAL__N_131spherical_bessel_j0_kernel_cudaERNS_18TensorIteratorBaseEENKUlvE_clEvENKUlvE0_clEvEUlfE_St5arrayIPcLm2EEEEviT0_T1_.uses_vcc, 1
	.set _ZN2at6native29vectorized_elementwise_kernelILi2EZZZNS0_12_GLOBAL__N_131spherical_bessel_j0_kernel_cudaERNS_18TensorIteratorBaseEENKUlvE_clEvENKUlvE0_clEvEUlfE_St5arrayIPcLm2EEEEviT0_T1_.uses_flat_scratch, 0
	.set _ZN2at6native29vectorized_elementwise_kernelILi2EZZZNS0_12_GLOBAL__N_131spherical_bessel_j0_kernel_cudaERNS_18TensorIteratorBaseEENKUlvE_clEvENKUlvE0_clEvEUlfE_St5arrayIPcLm2EEEEviT0_T1_.has_dyn_sized_stack, 0
	.set _ZN2at6native29vectorized_elementwise_kernelILi2EZZZNS0_12_GLOBAL__N_131spherical_bessel_j0_kernel_cudaERNS_18TensorIteratorBaseEENKUlvE_clEvENKUlvE0_clEvEUlfE_St5arrayIPcLm2EEEEviT0_T1_.has_recursion, 0
	.set _ZN2at6native29vectorized_elementwise_kernelILi2EZZZNS0_12_GLOBAL__N_131spherical_bessel_j0_kernel_cudaERNS_18TensorIteratorBaseEENKUlvE_clEvENKUlvE0_clEvEUlfE_St5arrayIPcLm2EEEEviT0_T1_.has_indirect_call, 0
	.section	.AMDGPU.csdata,"",@progbits
; Kernel info:
; codeLenInByte = 8712
; TotalNumSgprs: 15
; NumVgprs: 22
; ScratchSize: 0
; MemoryBound: 0
; FloatMode: 240
; IeeeMode: 1
; LDSByteSize: 0 bytes/workgroup (compile time only)
; SGPRBlocks: 0
; VGPRBlocks: 2
; NumSGPRsForWavesPerEU: 15
; NumVGPRsForWavesPerEU: 22
; Occupancy: 16
; WaveLimiterHint : 1
; COMPUTE_PGM_RSRC2:SCRATCH_EN: 0
; COMPUTE_PGM_RSRC2:USER_SGPR: 6
; COMPUTE_PGM_RSRC2:TRAP_HANDLER: 0
; COMPUTE_PGM_RSRC2:TGID_X_EN: 1
; COMPUTE_PGM_RSRC2:TGID_Y_EN: 0
; COMPUTE_PGM_RSRC2:TGID_Z_EN: 0
; COMPUTE_PGM_RSRC2:TIDIG_COMP_CNT: 0
	.section	.text._ZN2at6native27unrolled_elementwise_kernelIZZZNS0_12_GLOBAL__N_131spherical_bessel_j0_kernel_cudaERNS_18TensorIteratorBaseEENKUlvE_clEvENKUlvE0_clEvEUlfE_St5arrayIPcLm2EELi4E23TrivialOffsetCalculatorILi1EjESC_NS0_6memory15LoadWithoutCastENSD_16StoreWithoutCastEEEviT_T0_T2_T3_T4_T5_,"axG",@progbits,_ZN2at6native27unrolled_elementwise_kernelIZZZNS0_12_GLOBAL__N_131spherical_bessel_j0_kernel_cudaERNS_18TensorIteratorBaseEENKUlvE_clEvENKUlvE0_clEvEUlfE_St5arrayIPcLm2EELi4E23TrivialOffsetCalculatorILi1EjESC_NS0_6memory15LoadWithoutCastENSD_16StoreWithoutCastEEEviT_T0_T2_T3_T4_T5_,comdat
	.globl	_ZN2at6native27unrolled_elementwise_kernelIZZZNS0_12_GLOBAL__N_131spherical_bessel_j0_kernel_cudaERNS_18TensorIteratorBaseEENKUlvE_clEvENKUlvE0_clEvEUlfE_St5arrayIPcLm2EELi4E23TrivialOffsetCalculatorILi1EjESC_NS0_6memory15LoadWithoutCastENSD_16StoreWithoutCastEEEviT_T0_T2_T3_T4_T5_ ; -- Begin function _ZN2at6native27unrolled_elementwise_kernelIZZZNS0_12_GLOBAL__N_131spherical_bessel_j0_kernel_cudaERNS_18TensorIteratorBaseEENKUlvE_clEvENKUlvE0_clEvEUlfE_St5arrayIPcLm2EELi4E23TrivialOffsetCalculatorILi1EjESC_NS0_6memory15LoadWithoutCastENSD_16StoreWithoutCastEEEviT_T0_T2_T3_T4_T5_
	.p2align	8
	.type	_ZN2at6native27unrolled_elementwise_kernelIZZZNS0_12_GLOBAL__N_131spherical_bessel_j0_kernel_cudaERNS_18TensorIteratorBaseEENKUlvE_clEvENKUlvE0_clEvEUlfE_St5arrayIPcLm2EELi4E23TrivialOffsetCalculatorILi1EjESC_NS0_6memory15LoadWithoutCastENSD_16StoreWithoutCastEEEviT_T0_T2_T3_T4_T5_,@function
_ZN2at6native27unrolled_elementwise_kernelIZZZNS0_12_GLOBAL__N_131spherical_bessel_j0_kernel_cudaERNS_18TensorIteratorBaseEENKUlvE_clEvENKUlvE0_clEvEUlfE_St5arrayIPcLm2EELi4E23TrivialOffsetCalculatorILi1EjESC_NS0_6memory15LoadWithoutCastENSD_16StoreWithoutCastEEEviT_T0_T2_T3_T4_T5_: ; @_ZN2at6native27unrolled_elementwise_kernelIZZZNS0_12_GLOBAL__N_131spherical_bessel_j0_kernel_cudaERNS_18TensorIteratorBaseEENKUlvE_clEvENKUlvE0_clEvEUlfE_St5arrayIPcLm2EELi4E23TrivialOffsetCalculatorILi1EjESC_NS0_6memory15LoadWithoutCastENSD_16StoreWithoutCastEEEviT_T0_T2_T3_T4_T5_
; %bb.0:
	s_clause 0x1
	s_load_dword s0, s[4:5], 0x0
	s_load_dwordx4 s[8:11], s[4:5], 0x8
	s_lshl_b32 s3, s6, 10
	v_mov_b32_e32 v10, 0
	v_mov_b32_e32 v5, 0
	v_or_b32_e32 v6, s3, v0
	v_or_b32_e32 v8, 0x100, v0
	v_mov_b32_e32 v1, v0
	s_waitcnt lgkmcnt(0)
	s_sub_i32 s4, s0, s3
	v_cmp_gt_i32_e64 s0, s4, v0
	s_and_saveexec_b32 s1, s0
	s_cbranch_execz .LBB12_2
; %bb.1:
	v_mov_b32_e32 v7, 0
	v_lshlrev_b64 v[1:2], 2, v[6:7]
	v_add_co_u32 v1, vcc_lo, s10, v1
	v_add_co_ci_u32_e64 v2, null, s11, v2, vcc_lo
	global_load_dword v5, v[1:2], off
	v_or_b32_e32 v1, 0x100, v0
.LBB12_2:
	s_or_b32 exec_lo, exec_lo, s1
	s_mov_b32 s1, exec_lo
	v_cmpx_gt_i32_e64 s4, v1
	s_cbranch_execz .LBB12_4
; %bb.3:
	v_add_nc_u32_e32 v2, s3, v1
	v_mov_b32_e32 v3, 0
	v_add_nc_u32_e32 v1, 0x100, v1
	v_lshlrev_b64 v[2:3], 2, v[2:3]
	v_add_co_u32 v2, vcc_lo, s10, v2
	v_add_co_ci_u32_e64 v3, null, s11, v3, vcc_lo
	global_load_dword v10, v[2:3], off
.LBB12_4:
	s_or_b32 exec_lo, exec_lo, s1
	v_mov_b32_e32 v7, 0
	v_mov_b32_e32 v9, 0
	s_mov_b32 s1, exec_lo
	v_cmpx_gt_i32_e64 s4, v1
	s_cbranch_execz .LBB12_6
; %bb.5:
	v_add_nc_u32_e32 v2, s3, v1
	v_mov_b32_e32 v3, 0
	v_add_nc_u32_e32 v1, 0x100, v1
	v_lshlrev_b64 v[2:3], 2, v[2:3]
	v_add_co_u32 v2, vcc_lo, s10, v2
	v_add_co_ci_u32_e64 v3, null, s11, v3, vcc_lo
	global_load_dword v9, v[2:3], off
.LBB12_6:
	s_or_b32 exec_lo, exec_lo, s1
	s_mov_b32 s1, exec_lo
	v_cmpx_gt_i32_e64 s4, v1
	s_cbranch_execz .LBB12_8
; %bb.7:
	v_add_nc_u32_e32 v1, s3, v1
	v_mov_b32_e32 v2, 0
	v_lshlrev_b64 v[1:2], 2, v[1:2]
	v_add_co_u32 v1, vcc_lo, s10, v1
	v_add_co_ci_u32_e64 v2, null, s11, v2, vcc_lo
	global_load_dword v7, v[1:2], off
.LBB12_8:
	s_or_b32 exec_lo, exec_lo, s1
	v_mov_b32_e32 v1, 0
	v_mov_b32_e32 v2, v1
	;; [unrolled: 1-line block ×4, first 2 shown]
	s_and_saveexec_b32 s5, s0
	s_cbranch_execz .LBB12_20
; %bb.9:
	v_mov_b32_e32 v2, 0
	s_mov_b32 s6, exec_lo
	s_waitcnt vmcnt(0)
	v_cmpx_neq_f32_e64 0x7f800000, |v5|
	s_cbranch_execz .LBB12_19
; %bb.10:
                                        ; implicit-def: $vgpr2
	s_mov_b32 s2, exec_lo
	v_cmpx_nlt_f32_e64 |v5|, 0.5
	s_xor_b32 s7, exec_lo, s2
	s_cbranch_execz .LBB12_16
; %bb.11:
	v_and_b32_e32 v2, 0x7fffffff, v5
                                        ; implicit-def: $vgpr4
                                        ; implicit-def: $vgpr3
	s_mov_b32 s2, exec_lo
	v_cmpx_ngt_f32_e64 0x48000000, |v5|
	s_xor_b32 s10, exec_lo, s2
	s_cbranch_execz .LBB12_13
; %bb.12:
	s_mov_b32 s1, 0x7fffff
	v_mov_b32_e32 v12, 0
	v_and_or_b32 v19, v2, s1, 0x800000
	v_mad_u64_u32 v[3:4], null, 0xfe5163ab, v19, 0
	v_mov_b32_e32 v11, v4
	v_lshrrev_b32_e32 v4, 23, v2
	v_mad_u64_u32 v[13:14], null, 0x3c439041, v19, v[11:12]
	v_add_nc_u32_e32 v4, 0xffffff88, v4
	v_cmp_lt_u32_e32 vcc_lo, 63, v4
	v_mov_b32_e32 v11, v14
	v_cndmask_b32_e64 v18, 0, 0xffffffc0, vcc_lo
	v_mad_u64_u32 v[14:15], null, 0xdb629599, v19, v[11:12]
	v_add_nc_u32_e32 v4, v18, v4
	v_mov_b32_e32 v11, v15
	v_cmp_lt_u32_e64 s1, 31, v4
	v_cndmask_b32_e32 v3, v14, v3, vcc_lo
	v_mad_u64_u32 v[15:16], null, 0xf534ddc0, v19, v[11:12]
	v_cndmask_b32_e64 v20, 0, 0xffffffe0, s1
	v_add_nc_u32_e32 v4, v20, v4
	v_mov_b32_e32 v11, v16
	v_cndmask_b32_e32 v13, v15, v13, vcc_lo
	v_cmp_lt_u32_e64 s2, 31, v4
	v_mad_u64_u32 v[16:17], null, 0xfc2757d1, v19, v[11:12]
	v_cndmask_b32_e64 v3, v13, v3, s1
	v_mov_b32_e32 v11, v17
	v_mad_u64_u32 v[17:18], null, 0x4e441529, v19, v[11:12]
	v_mov_b32_e32 v11, v18
	v_cndmask_b32_e64 v18, 0, 0xffffffe0, s2
	v_mad_u64_u32 v[11:12], null, 0xa2f9836e, v19, v[11:12]
	v_cndmask_b32_e32 v19, v17, v15, vcc_lo
	v_add_nc_u32_e32 v4, v18, v4
	v_cndmask_b32_e32 v11, v11, v16, vcc_lo
	v_cndmask_b32_e32 v12, v12, v17, vcc_lo
	;; [unrolled: 1-line block ×3, first 2 shown]
	v_sub_nc_u32_e32 v17, 32, v4
	v_cmp_eq_u32_e32 vcc_lo, 0, v4
	v_cndmask_b32_e64 v15, v11, v19, s1
	v_cndmask_b32_e64 v11, v12, v11, s1
	;; [unrolled: 1-line block ×8, first 2 shown]
	v_alignbit_b32 v18, v11, v15, v17
	v_alignbit_b32 v14, v15, v12, v17
	;; [unrolled: 1-line block ×3, first 2 shown]
	v_cndmask_b32_e32 v4, v18, v11, vcc_lo
	v_cndmask_b32_e32 v11, v14, v15, vcc_lo
	;; [unrolled: 1-line block ×3, first 2 shown]
	v_bfe_u32 v13, v4, 29, 1
	v_alignbit_b32 v14, v4, v11, 30
	v_alignbit_b32 v11, v11, v12, 30
	;; [unrolled: 1-line block ×3, first 2 shown]
	v_sub_nc_u32_e32 v15, 0, v13
	v_xor_b32_e32 v14, v14, v15
	v_xor_b32_e32 v11, v11, v15
	v_xor_b32_e32 v3, v3, v15
	v_lshrrev_b32_e32 v15, 29, v4
	v_lshrrev_b32_e32 v4, 30, v4
	v_ffbh_u32_e32 v16, v14
	v_add_nc_u32_e32 v4, v13, v4
	v_min_u32_e32 v16, 32, v16
	v_sub_nc_u32_e32 v12, 31, v16
	v_lshlrev_b32_e32 v17, 23, v16
	v_alignbit_b32 v14, v14, v11, v12
	v_alignbit_b32 v3, v11, v3, v12
	v_lshlrev_b32_e32 v11, 31, v15
	v_alignbit_b32 v12, v14, v3, 9
	v_or_b32_e32 v15, 0.5, v11
	v_lshrrev_b32_e32 v14, 9, v14
	v_or_b32_e32 v11, 0x33000000, v11
	v_ffbh_u32_e32 v18, v12
	v_sub_nc_u32_e32 v15, v15, v17
	v_min_u32_e32 v17, 32, v18
	v_or_b32_e32 v14, v14, v15
	v_not_b32_e32 v15, v17
	v_mul_f32_e32 v18, 0x3fc90fda, v14
	v_add_lshl_u32 v16, v17, v16, 23
	v_alignbit_b32 v3, v12, v3, v15
	v_fma_f32 v12, 0x3fc90fda, v14, -v18
	v_sub_nc_u32_e32 v11, v11, v16
	v_lshrrev_b32_e32 v3, 9, v3
	v_fmamk_f32 v12, v14, 0x33a22168, v12
	v_or_b32_e32 v3, v11, v3
	v_fmac_f32_e32 v12, 0x3fc90fda, v3
	v_add_f32_e32 v3, v18, v12
.LBB12_13:
	s_andn2_saveexec_b32 s1, s10
; %bb.14:
	v_mul_f32_e64 v3, 0x3f22f983, |v5|
	v_rndne_f32_e32 v4, v3
	v_fma_f32 v3, 0xbfc90fda, v4, |v5|
	v_fmamk_f32 v3, v4, 0xb3a22168, v3
	v_fmamk_f32 v3, v4, 0xa7c234c4, v3
	v_cvt_i32_f32_e32 v4, v4
; %bb.15:
	s_or_b32 exec_lo, exec_lo, s1
	v_mul_f32_e32 v11, v3, v3
	s_mov_b32 s1, 0xb94c1982
	s_mov_b32 s2, 0x37d75334
	v_and_b32_e32 v14, 1, v4
	v_lshlrev_b32_e32 v4, 30, v4
	v_fmaak_f32 v12, s1, v11, 0x3c0881c4
	v_fmaak_f32 v13, s2, v11, 0xbab64f3b
	v_xor_b32_e32 v2, v2, v5
	v_cmp_eq_u32_e32 vcc_lo, 0, v14
	v_and_b32_e32 v4, 0x80000000, v4
	v_fmaak_f32 v12, v11, v12, 0xbe2aaa9d
	v_fmaak_f32 v13, v11, v13, 0x3d2aabf7
	v_mul_f32_e32 v12, v11, v12
	v_fmaak_f32 v13, v11, v13, 0xbf000004
	v_fmac_f32_e32 v3, v3, v12
	v_fma_f32 v11, v11, v13, 1.0
	v_cndmask_b32_e32 v3, v11, v3, vcc_lo
	v_cmp_class_f32_e64 vcc_lo, v5, 0x1f8
	v_xor3_b32 v2, v2, v4, v3
	v_cndmask_b32_e32 v2, 0x7fc00000, v2, vcc_lo
	v_div_scale_f32 v3, null, v5, v5, v2
	v_rcp_f32_e32 v4, v3
	v_fma_f32 v11, -v3, v4, 1.0
	v_fmac_f32_e32 v4, v11, v4
	v_div_scale_f32 v11, vcc_lo, v2, v5, v2
	v_mul_f32_e32 v12, v11, v4
	v_fma_f32 v13, -v3, v12, v11
	v_fmac_f32_e32 v12, v13, v4
	v_fma_f32 v3, -v3, v12, v11
	v_div_fmas_f32 v3, v3, v4, v12
	v_div_fixup_f32 v2, v3, v5, v2
                                        ; implicit-def: $vgpr5
.LBB12_16:
	s_andn2_saveexec_b32 s1, s7
	s_cbranch_execz .LBB12_18
; %bb.17:
	v_mul_f32_e32 v2, v5, v5
	s_mov_b32 s2, 0x2f309231
	v_fmaak_f32 v3, s2, v2, 0xb2d7322b
	v_fmaak_f32 v3, v2, v3, 0x3638ef1d
	;; [unrolled: 1-line block ×5, first 2 shown]
	v_fma_f32 v2, v2, v3, 1.0
.LBB12_18:
	s_or_b32 exec_lo, exec_lo, s1
.LBB12_19:
	s_or_b32 exec_lo, exec_lo, s6
	v_mov_b32_e32 v5, v1
	v_mov_b32_e32 v3, v1
	;; [unrolled: 1-line block ×7, first 2 shown]
.LBB12_20:
	s_or_b32 exec_lo, exec_lo, s5
	s_mov_b32 s5, exec_lo
	v_cmpx_gt_i32_e64 s4, v8
	s_cbranch_execz .LBB12_32
; %bb.21:
	v_mov_b32_e32 v2, 0
	s_mov_b32 s6, exec_lo
	s_waitcnt vmcnt(0)
	v_cmpx_neq_f32_e64 0x7f800000, |v10|
	s_cbranch_execz .LBB12_31
; %bb.22:
	s_mov_b32 s2, exec_lo
	v_cmpx_nlt_f32_e64 |v10|, 0.5
	s_xor_b32 s7, exec_lo, s2
	s_cbranch_execz .LBB12_28
; %bb.23:
	v_and_b32_e32 v2, 0x7fffffff, v10
                                        ; implicit-def: $vgpr11
                                        ; implicit-def: $vgpr5
	s_mov_b32 s2, exec_lo
	v_cmpx_ngt_f32_e64 0x48000000, |v10|
	s_xor_b32 s10, exec_lo, s2
	s_cbranch_execz .LBB12_25
; %bb.24:
	s_mov_b32 s1, 0x7fffff
	v_mov_b32_e32 v13, 0
	v_and_or_b32 v5, v2, s1, 0x800000
	v_lshrrev_b32_e32 v18, 23, v2
	v_mad_u64_u32 v[11:12], null, 0xfe5163ab, v5, 0
	v_add_nc_u32_e32 v19, 0xffffff88, v18
	v_cmp_lt_u32_e32 vcc_lo, 63, v19
	v_mad_u64_u32 v[14:15], null, 0x3c439041, v5, v[12:13]
	v_cndmask_b32_e64 v20, 0, 0xffffffc0, vcc_lo
	v_mov_b32_e32 v12, v15
	v_add_nc_u32_e32 v20, v20, v19
	v_mad_u64_u32 v[15:16], null, 0xdb629599, v5, v[12:13]
	v_cmp_lt_u32_e64 s1, 31, v20
	v_cndmask_b32_e64 v21, 0, 0xffffffe0, s1
	v_mov_b32_e32 v12, v16
	v_cndmask_b32_e32 v11, v15, v11, vcc_lo
	v_mad_u64_u32 v[16:17], null, 0xf534ddc0, v5, v[12:13]
	v_mov_b32_e32 v12, v17
	v_cndmask_b32_e32 v14, v16, v14, vcc_lo
	v_mad_u64_u32 v[17:18], null, 0xfc2757d1, v5, v[12:13]
	v_cndmask_b32_e64 v11, v14, v11, s1
	v_mov_b32_e32 v12, v18
	v_mad_u64_u32 v[18:19], null, 0x4e441529, v5, v[12:13]
	v_mov_b32_e32 v12, v19
	v_add_nc_u32_e32 v19, v21, v20
	v_cndmask_b32_e32 v20, v18, v16, vcc_lo
	v_mad_u64_u32 v[12:13], null, 0xa2f9836e, v5, v[12:13]
	v_cmp_lt_u32_e64 s2, 31, v19
	v_cndmask_b32_e64 v5, 0, 0xffffffe0, s2
	v_cndmask_b32_e32 v12, v12, v17, vcc_lo
	v_cndmask_b32_e32 v13, v13, v18, vcc_lo
	;; [unrolled: 1-line block ×3, first 2 shown]
	v_add_nc_u32_e32 v5, v5, v19
	v_cndmask_b32_e64 v16, v12, v20, s1
	v_cndmask_b32_e64 v12, v13, v12, s1
	;; [unrolled: 1-line block ×4, first 2 shown]
	v_sub_nc_u32_e32 v18, 32, v5
	v_cmp_eq_u32_e32 vcc_lo, 0, v5
	v_cndmask_b32_e64 v12, v12, v16, s2
	v_cndmask_b32_e64 v16, v16, v13, s2
	v_cndmask_b32_e64 v13, v13, v17, s2
	v_cndmask_b32_e64 v11, v17, v11, s2
	v_alignbit_b32 v19, v12, v16, v18
	v_alignbit_b32 v15, v16, v13, v18
	v_alignbit_b32 v17, v13, v11, v18
	v_cndmask_b32_e32 v5, v19, v12, vcc_lo
	v_cndmask_b32_e32 v12, v15, v16, vcc_lo
	;; [unrolled: 1-line block ×3, first 2 shown]
	v_bfe_u32 v14, v5, 29, 1
	v_alignbit_b32 v15, v5, v12, 30
	v_alignbit_b32 v12, v12, v13, 30
	;; [unrolled: 1-line block ×3, first 2 shown]
	v_sub_nc_u32_e32 v16, 0, v14
	v_xor_b32_e32 v15, v15, v16
	v_xor_b32_e32 v12, v12, v16
	;; [unrolled: 1-line block ×3, first 2 shown]
	v_lshrrev_b32_e32 v16, 29, v5
	v_ffbh_u32_e32 v17, v15
	v_min_u32_e32 v17, 32, v17
	v_sub_nc_u32_e32 v13, 31, v17
	v_lshlrev_b32_e32 v18, 23, v17
	v_alignbit_b32 v15, v15, v12, v13
	v_alignbit_b32 v11, v12, v11, v13
	v_lshlrev_b32_e32 v12, 31, v16
	v_alignbit_b32 v13, v15, v11, 9
	v_or_b32_e32 v16, 0.5, v12
	v_lshrrev_b32_e32 v15, 9, v15
	v_or_b32_e32 v12, 0x33000000, v12
	v_ffbh_u32_e32 v19, v13
	v_sub_nc_u32_e32 v16, v16, v18
	v_min_u32_e32 v18, 32, v19
	v_or_b32_e32 v15, v15, v16
	v_not_b32_e32 v16, v18
	v_mul_f32_e32 v19, 0x3fc90fda, v15
	v_add_lshl_u32 v17, v18, v17, 23
	v_alignbit_b32 v11, v13, v11, v16
	v_fma_f32 v13, 0x3fc90fda, v15, -v19
	v_sub_nc_u32_e32 v12, v12, v17
	v_lshrrev_b32_e32 v11, 9, v11
	v_fmamk_f32 v13, v15, 0x33a22168, v13
	v_or_b32_e32 v11, v12, v11
	v_fmac_f32_e32 v13, 0x3fc90fda, v11
	v_lshrrev_b32_e32 v11, 30, v5
	v_add_f32_e32 v5, v19, v13
	v_add_nc_u32_e32 v11, v14, v11
.LBB12_25:
	s_andn2_saveexec_b32 s1, s10
; %bb.26:
	v_mul_f32_e64 v5, 0x3f22f983, |v10|
	v_rndne_f32_e32 v11, v5
	v_fma_f32 v5, 0xbfc90fda, v11, |v10|
	v_fmamk_f32 v5, v11, 0xb3a22168, v5
	v_fmamk_f32 v5, v11, 0xa7c234c4, v5
	v_cvt_i32_f32_e32 v11, v11
; %bb.27:
	s_or_b32 exec_lo, exec_lo, s1
	v_mul_f32_e32 v12, v5, v5
	s_mov_b32 s1, 0xb94c1982
	s_mov_b32 s2, 0x37d75334
	v_and_b32_e32 v15, 1, v11
	v_lshlrev_b32_e32 v11, 30, v11
	v_fmaak_f32 v13, s1, v12, 0x3c0881c4
	v_fmaak_f32 v14, s2, v12, 0xbab64f3b
	v_xor_b32_e32 v2, v2, v10
	v_cmp_eq_u32_e32 vcc_lo, 0, v15
	v_and_b32_e32 v11, 0x80000000, v11
	v_fmaak_f32 v13, v12, v13, 0xbe2aaa9d
	v_fmaak_f32 v14, v12, v14, 0x3d2aabf7
	v_mul_f32_e32 v13, v12, v13
	v_fmaak_f32 v14, v12, v14, 0xbf000004
	v_fmac_f32_e32 v5, v5, v13
	v_fma_f32 v12, v12, v14, 1.0
	v_cndmask_b32_e32 v5, v12, v5, vcc_lo
	v_cmp_class_f32_e64 vcc_lo, v10, 0x1f8
	v_xor3_b32 v2, v2, v11, v5
	v_cndmask_b32_e32 v2, 0x7fc00000, v2, vcc_lo
	v_div_scale_f32 v5, null, v10, v10, v2
	v_rcp_f32_e32 v11, v5
	v_fma_f32 v12, -v5, v11, 1.0
	v_fmac_f32_e32 v11, v12, v11
	v_div_scale_f32 v12, vcc_lo, v2, v10, v2
	v_mul_f32_e32 v13, v12, v11
	v_fma_f32 v14, -v5, v13, v12
	v_fmac_f32_e32 v13, v14, v11
	v_fma_f32 v5, -v5, v13, v12
	v_div_fmas_f32 v5, v5, v11, v13
	v_div_fixup_f32 v2, v5, v10, v2
                                        ; implicit-def: $vgpr10
.LBB12_28:
	s_andn2_saveexec_b32 s1, s7
	s_cbranch_execz .LBB12_30
; %bb.29:
	v_mul_f32_e32 v2, v10, v10
	s_mov_b32 s2, 0x2f309231
	v_fmaak_f32 v5, s2, v2, 0xb2d7322b
	v_fmaak_f32 v5, v2, v5, 0x3638ef1d
	;; [unrolled: 1-line block ×5, first 2 shown]
	v_fma_f32 v2, v2, v5, 1.0
.LBB12_30:
	s_or_b32 exec_lo, exec_lo, s1
.LBB12_31:
	s_or_b32 exec_lo, exec_lo, s6
.LBB12_32:
	s_or_b32 exec_lo, exec_lo, s5
	s_waitcnt vmcnt(0)
	v_or_b32_e32 v5, 0x200, v0
	s_mov_b32 s5, exec_lo
	v_cmpx_gt_i32_e64 s4, v5
	s_cbranch_execz .LBB12_44
; %bb.33:
	v_mov_b32_e32 v3, 0
	s_mov_b32 s6, exec_lo
	v_cmpx_neq_f32_e64 0x7f800000, |v9|
	s_cbranch_execz .LBB12_43
; %bb.34:
	s_mov_b32 s2, exec_lo
	v_cmpx_nlt_f32_e64 |v9|, 0.5
	s_xor_b32 s7, exec_lo, s2
	s_cbranch_execz .LBB12_40
; %bb.35:
	v_and_b32_e32 v3, 0x7fffffff, v9
                                        ; implicit-def: $vgpr10
                                        ; implicit-def: $vgpr5
	s_mov_b32 s2, exec_lo
	v_cmpx_ngt_f32_e64 0x48000000, |v9|
	s_xor_b32 s10, exec_lo, s2
	s_cbranch_execz .LBB12_37
; %bb.36:
	s_mov_b32 s1, 0x7fffff
	v_mov_b32_e32 v12, 0
	v_and_or_b32 v5, v3, s1, 0x800000
	v_lshrrev_b32_e32 v17, 23, v3
	v_mad_u64_u32 v[10:11], null, 0xfe5163ab, v5, 0
	v_add_nc_u32_e32 v18, 0xffffff88, v17
	v_cmp_lt_u32_e32 vcc_lo, 63, v18
	v_mad_u64_u32 v[13:14], null, 0x3c439041, v5, v[11:12]
	v_cndmask_b32_e64 v19, 0, 0xffffffc0, vcc_lo
	v_mov_b32_e32 v11, v14
	v_add_nc_u32_e32 v19, v19, v18
	v_mad_u64_u32 v[14:15], null, 0xdb629599, v5, v[11:12]
	v_cmp_lt_u32_e64 s1, 31, v19
	v_cndmask_b32_e64 v20, 0, 0xffffffe0, s1
	v_mov_b32_e32 v11, v15
	v_cndmask_b32_e32 v10, v14, v10, vcc_lo
	v_mad_u64_u32 v[15:16], null, 0xf534ddc0, v5, v[11:12]
	v_mov_b32_e32 v11, v16
	v_cndmask_b32_e32 v13, v15, v13, vcc_lo
	v_mad_u64_u32 v[16:17], null, 0xfc2757d1, v5, v[11:12]
	v_cndmask_b32_e64 v10, v13, v10, s1
	v_mov_b32_e32 v11, v17
	v_mad_u64_u32 v[17:18], null, 0x4e441529, v5, v[11:12]
	v_mov_b32_e32 v11, v18
	v_add_nc_u32_e32 v18, v20, v19
	v_cndmask_b32_e32 v19, v17, v15, vcc_lo
	v_mad_u64_u32 v[11:12], null, 0xa2f9836e, v5, v[11:12]
	v_cmp_lt_u32_e64 s2, 31, v18
	v_cndmask_b32_e64 v5, 0, 0xffffffe0, s2
	v_cndmask_b32_e32 v11, v11, v16, vcc_lo
	v_cndmask_b32_e32 v12, v12, v17, vcc_lo
	;; [unrolled: 1-line block ×3, first 2 shown]
	v_add_nc_u32_e32 v5, v5, v18
	v_cndmask_b32_e64 v15, v11, v19, s1
	v_cndmask_b32_e64 v11, v12, v11, s1
	;; [unrolled: 1-line block ×4, first 2 shown]
	v_sub_nc_u32_e32 v17, 32, v5
	v_cmp_eq_u32_e32 vcc_lo, 0, v5
	v_cndmask_b32_e64 v11, v11, v15, s2
	v_cndmask_b32_e64 v15, v15, v12, s2
	v_cndmask_b32_e64 v12, v12, v16, s2
	v_cndmask_b32_e64 v10, v16, v10, s2
	v_alignbit_b32 v18, v11, v15, v17
	v_alignbit_b32 v14, v15, v12, v17
	;; [unrolled: 1-line block ×3, first 2 shown]
	v_cndmask_b32_e32 v5, v18, v11, vcc_lo
	v_cndmask_b32_e32 v11, v14, v15, vcc_lo
	;; [unrolled: 1-line block ×3, first 2 shown]
	v_bfe_u32 v13, v5, 29, 1
	v_alignbit_b32 v14, v5, v11, 30
	v_alignbit_b32 v11, v11, v12, 30
	;; [unrolled: 1-line block ×3, first 2 shown]
	v_sub_nc_u32_e32 v15, 0, v13
	v_xor_b32_e32 v14, v14, v15
	v_xor_b32_e32 v11, v11, v15
	;; [unrolled: 1-line block ×3, first 2 shown]
	v_lshrrev_b32_e32 v15, 29, v5
	v_ffbh_u32_e32 v16, v14
	v_min_u32_e32 v16, 32, v16
	v_sub_nc_u32_e32 v12, 31, v16
	v_lshlrev_b32_e32 v17, 23, v16
	v_alignbit_b32 v14, v14, v11, v12
	v_alignbit_b32 v10, v11, v10, v12
	v_lshlrev_b32_e32 v11, 31, v15
	v_alignbit_b32 v12, v14, v10, 9
	v_or_b32_e32 v15, 0.5, v11
	v_lshrrev_b32_e32 v14, 9, v14
	v_or_b32_e32 v11, 0x33000000, v11
	v_ffbh_u32_e32 v18, v12
	v_sub_nc_u32_e32 v15, v15, v17
	v_min_u32_e32 v17, 32, v18
	v_or_b32_e32 v14, v14, v15
	v_not_b32_e32 v15, v17
	v_mul_f32_e32 v18, 0x3fc90fda, v14
	v_add_lshl_u32 v16, v17, v16, 23
	v_alignbit_b32 v10, v12, v10, v15
	v_fma_f32 v12, 0x3fc90fda, v14, -v18
	v_sub_nc_u32_e32 v11, v11, v16
	v_lshrrev_b32_e32 v10, 9, v10
	v_fmamk_f32 v12, v14, 0x33a22168, v12
	v_or_b32_e32 v10, v11, v10
	v_fmac_f32_e32 v12, 0x3fc90fda, v10
	v_lshrrev_b32_e32 v10, 30, v5
	v_add_f32_e32 v5, v18, v12
	v_add_nc_u32_e32 v10, v13, v10
.LBB12_37:
	s_andn2_saveexec_b32 s1, s10
; %bb.38:
	v_mul_f32_e64 v5, 0x3f22f983, |v9|
	v_rndne_f32_e32 v10, v5
	v_fma_f32 v5, 0xbfc90fda, v10, |v9|
	v_fmamk_f32 v5, v10, 0xb3a22168, v5
	v_fmamk_f32 v5, v10, 0xa7c234c4, v5
	v_cvt_i32_f32_e32 v10, v10
; %bb.39:
	s_or_b32 exec_lo, exec_lo, s1
	v_mul_f32_e32 v11, v5, v5
	s_mov_b32 s1, 0xb94c1982
	s_mov_b32 s2, 0x37d75334
	v_and_b32_e32 v14, 1, v10
	v_lshlrev_b32_e32 v10, 30, v10
	v_fmaak_f32 v12, s1, v11, 0x3c0881c4
	v_fmaak_f32 v13, s2, v11, 0xbab64f3b
	v_xor_b32_e32 v3, v3, v9
	v_cmp_eq_u32_e32 vcc_lo, 0, v14
	v_and_b32_e32 v10, 0x80000000, v10
	v_fmaak_f32 v12, v11, v12, 0xbe2aaa9d
	v_fmaak_f32 v13, v11, v13, 0x3d2aabf7
	v_mul_f32_e32 v12, v11, v12
	v_fmaak_f32 v13, v11, v13, 0xbf000004
	v_fmac_f32_e32 v5, v5, v12
	v_fma_f32 v11, v11, v13, 1.0
	v_cndmask_b32_e32 v5, v11, v5, vcc_lo
	v_cmp_class_f32_e64 vcc_lo, v9, 0x1f8
	v_xor3_b32 v3, v3, v10, v5
	v_cndmask_b32_e32 v3, 0x7fc00000, v3, vcc_lo
	v_div_scale_f32 v5, null, v9, v9, v3
	v_rcp_f32_e32 v10, v5
	v_fma_f32 v11, -v5, v10, 1.0
	v_fmac_f32_e32 v10, v11, v10
	v_div_scale_f32 v11, vcc_lo, v3, v9, v3
	v_mul_f32_e32 v12, v11, v10
	v_fma_f32 v13, -v5, v12, v11
	v_fmac_f32_e32 v12, v13, v10
	v_fma_f32 v5, -v5, v12, v11
	v_div_fmas_f32 v5, v5, v10, v12
	v_div_fixup_f32 v3, v5, v9, v3
                                        ; implicit-def: $vgpr9
.LBB12_40:
	s_andn2_saveexec_b32 s1, s7
	s_cbranch_execz .LBB12_42
; %bb.41:
	v_mul_f32_e32 v3, v9, v9
	s_mov_b32 s2, 0x2f309231
	v_fmaak_f32 v5, s2, v3, 0xb2d7322b
	v_fmaak_f32 v5, v3, v5, 0x3638ef1d
	;; [unrolled: 1-line block ×5, first 2 shown]
	v_fma_f32 v3, v3, v5, 1.0
.LBB12_42:
	s_or_b32 exec_lo, exec_lo, s1
.LBB12_43:
	s_or_b32 exec_lo, exec_lo, s6
.LBB12_44:
	s_or_b32 exec_lo, exec_lo, s5
	v_or_b32_e32 v5, 0x300, v0
	s_mov_b32 s5, exec_lo
	v_cmpx_gt_i32_e64 s4, v5
	s_cbranch_execnz .LBB12_50
; %bb.45:
	s_or_b32 exec_lo, exec_lo, s5
	s_and_saveexec_b32 s1, s0
	s_xor_b32 s0, exec_lo, s1
	s_cbranch_execnz .LBB12_61
.LBB12_46:
	s_or_b32 exec_lo, exec_lo, s0
	s_mov_b32 s0, exec_lo
	v_cmpx_gt_i32_e64 s4, v0
	s_cbranch_execnz .LBB12_62
.LBB12_47:
	s_or_b32 exec_lo, exec_lo, s0
	s_mov_b32 s0, exec_lo
	v_cmpx_gt_i32_e64 s4, v0
	s_cbranch_execnz .LBB12_63
.LBB12_48:
	s_or_b32 exec_lo, exec_lo, s0
	s_mov_b32 s0, exec_lo
	v_cmpx_gt_i32_e64 s4, v0
	s_cbranch_execnz .LBB12_64
.LBB12_49:
	s_endpgm
.LBB12_50:
	v_mov_b32_e32 v4, 0
	s_mov_b32 s6, exec_lo
	v_cmpx_neq_f32_e64 0x7f800000, |v7|
	s_cbranch_execz .LBB12_60
; %bb.51:
	s_mov_b32 s2, exec_lo
	v_cmpx_nlt_f32_e64 |v7|, 0.5
	s_xor_b32 s7, exec_lo, s2
	s_cbranch_execz .LBB12_57
; %bb.52:
	v_and_b32_e32 v4, 0x7fffffff, v7
                                        ; implicit-def: $vgpr9
                                        ; implicit-def: $vgpr5
	s_mov_b32 s2, exec_lo
	v_cmpx_ngt_f32_e64 0x48000000, |v7|
	s_xor_b32 s10, exec_lo, s2
	s_cbranch_execz .LBB12_54
; %bb.53:
	s_mov_b32 s1, 0x7fffff
	v_mov_b32_e32 v11, 0
	v_and_or_b32 v5, v4, s1, 0x800000
	v_lshrrev_b32_e32 v16, 23, v4
	v_mad_u64_u32 v[9:10], null, 0xfe5163ab, v5, 0
	v_add_nc_u32_e32 v17, 0xffffff88, v16
	v_cmp_lt_u32_e32 vcc_lo, 63, v17
	v_mad_u64_u32 v[12:13], null, 0x3c439041, v5, v[10:11]
	v_cndmask_b32_e64 v18, 0, 0xffffffc0, vcc_lo
	v_mov_b32_e32 v10, v13
	v_add_nc_u32_e32 v18, v18, v17
	v_mad_u64_u32 v[13:14], null, 0xdb629599, v5, v[10:11]
	v_cmp_lt_u32_e64 s1, 31, v18
	v_cndmask_b32_e64 v19, 0, 0xffffffe0, s1
	v_mov_b32_e32 v10, v14
	v_cndmask_b32_e32 v9, v13, v9, vcc_lo
	v_mad_u64_u32 v[14:15], null, 0xf534ddc0, v5, v[10:11]
	v_mov_b32_e32 v10, v15
	v_cndmask_b32_e32 v12, v14, v12, vcc_lo
	v_mad_u64_u32 v[15:16], null, 0xfc2757d1, v5, v[10:11]
	v_cndmask_b32_e64 v9, v12, v9, s1
	v_mov_b32_e32 v10, v16
	v_mad_u64_u32 v[16:17], null, 0x4e441529, v5, v[10:11]
	v_mov_b32_e32 v10, v17
	v_add_nc_u32_e32 v17, v19, v18
	v_cndmask_b32_e32 v18, v16, v14, vcc_lo
	v_mad_u64_u32 v[10:11], null, 0xa2f9836e, v5, v[10:11]
	v_cmp_lt_u32_e64 s2, 31, v17
	v_cndmask_b32_e64 v5, 0, 0xffffffe0, s2
	v_cndmask_b32_e32 v10, v10, v15, vcc_lo
	v_cndmask_b32_e32 v11, v11, v16, vcc_lo
	;; [unrolled: 1-line block ×3, first 2 shown]
	v_add_nc_u32_e32 v5, v5, v17
	v_cndmask_b32_e64 v14, v10, v18, s1
	v_cndmask_b32_e64 v10, v11, v10, s1
	;; [unrolled: 1-line block ×4, first 2 shown]
	v_sub_nc_u32_e32 v16, 32, v5
	v_cmp_eq_u32_e32 vcc_lo, 0, v5
	v_cndmask_b32_e64 v10, v10, v14, s2
	v_cndmask_b32_e64 v14, v14, v11, s2
	;; [unrolled: 1-line block ×4, first 2 shown]
	v_alignbit_b32 v17, v10, v14, v16
	v_alignbit_b32 v13, v14, v11, v16
	;; [unrolled: 1-line block ×3, first 2 shown]
	v_cndmask_b32_e32 v5, v17, v10, vcc_lo
	v_cndmask_b32_e32 v10, v13, v14, vcc_lo
	;; [unrolled: 1-line block ×3, first 2 shown]
	v_bfe_u32 v12, v5, 29, 1
	v_alignbit_b32 v13, v5, v10, 30
	v_alignbit_b32 v10, v10, v11, 30
	;; [unrolled: 1-line block ×3, first 2 shown]
	v_sub_nc_u32_e32 v14, 0, v12
	v_xor_b32_e32 v13, v13, v14
	v_xor_b32_e32 v10, v10, v14
	;; [unrolled: 1-line block ×3, first 2 shown]
	v_lshrrev_b32_e32 v14, 29, v5
	v_ffbh_u32_e32 v15, v13
	v_min_u32_e32 v15, 32, v15
	v_sub_nc_u32_e32 v11, 31, v15
	v_lshlrev_b32_e32 v16, 23, v15
	v_alignbit_b32 v13, v13, v10, v11
	v_alignbit_b32 v9, v10, v9, v11
	v_lshlrev_b32_e32 v10, 31, v14
	v_alignbit_b32 v11, v13, v9, 9
	v_or_b32_e32 v14, 0.5, v10
	v_lshrrev_b32_e32 v13, 9, v13
	v_or_b32_e32 v10, 0x33000000, v10
	v_ffbh_u32_e32 v17, v11
	v_sub_nc_u32_e32 v14, v14, v16
	v_min_u32_e32 v16, 32, v17
	v_or_b32_e32 v13, v13, v14
	v_not_b32_e32 v14, v16
	v_mul_f32_e32 v17, 0x3fc90fda, v13
	v_add_lshl_u32 v15, v16, v15, 23
	v_alignbit_b32 v9, v11, v9, v14
	v_fma_f32 v11, 0x3fc90fda, v13, -v17
	v_sub_nc_u32_e32 v10, v10, v15
	v_lshrrev_b32_e32 v9, 9, v9
	v_fmamk_f32 v11, v13, 0x33a22168, v11
	v_or_b32_e32 v9, v10, v9
	v_fmac_f32_e32 v11, 0x3fc90fda, v9
	v_lshrrev_b32_e32 v9, 30, v5
	v_add_f32_e32 v5, v17, v11
	v_add_nc_u32_e32 v9, v12, v9
.LBB12_54:
	s_andn2_saveexec_b32 s1, s10
; %bb.55:
	v_mul_f32_e64 v5, 0x3f22f983, |v7|
	v_rndne_f32_e32 v9, v5
	v_fma_f32 v5, 0xbfc90fda, v9, |v7|
	v_fmamk_f32 v5, v9, 0xb3a22168, v5
	v_fmamk_f32 v5, v9, 0xa7c234c4, v5
	v_cvt_i32_f32_e32 v9, v9
; %bb.56:
	s_or_b32 exec_lo, exec_lo, s1
	v_mul_f32_e32 v10, v5, v5
	s_mov_b32 s1, 0xb94c1982
	s_mov_b32 s2, 0x37d75334
	v_and_b32_e32 v13, 1, v9
	v_lshlrev_b32_e32 v9, 30, v9
	v_fmaak_f32 v11, s1, v10, 0x3c0881c4
	v_fmaak_f32 v12, s2, v10, 0xbab64f3b
	v_xor_b32_e32 v4, v4, v7
	v_cmp_eq_u32_e32 vcc_lo, 0, v13
	v_and_b32_e32 v9, 0x80000000, v9
	v_fmaak_f32 v11, v10, v11, 0xbe2aaa9d
	v_fmaak_f32 v12, v10, v12, 0x3d2aabf7
	v_mul_f32_e32 v11, v10, v11
	v_fmaak_f32 v12, v10, v12, 0xbf000004
	v_fmac_f32_e32 v5, v5, v11
	v_fma_f32 v10, v10, v12, 1.0
	v_cndmask_b32_e32 v5, v10, v5, vcc_lo
	v_cmp_class_f32_e64 vcc_lo, v7, 0x1f8
	v_xor3_b32 v4, v4, v9, v5
	v_cndmask_b32_e32 v4, 0x7fc00000, v4, vcc_lo
	v_div_scale_f32 v5, null, v7, v7, v4
	v_rcp_f32_e32 v9, v5
	v_fma_f32 v10, -v5, v9, 1.0
	v_fmac_f32_e32 v9, v10, v9
	v_div_scale_f32 v10, vcc_lo, v4, v7, v4
	v_mul_f32_e32 v11, v10, v9
	v_fma_f32 v12, -v5, v11, v10
	v_fmac_f32_e32 v11, v12, v9
	v_fma_f32 v5, -v5, v11, v10
	v_div_fmas_f32 v5, v5, v9, v11
	v_div_fixup_f32 v4, v5, v7, v4
                                        ; implicit-def: $vgpr7
.LBB12_57:
	s_andn2_saveexec_b32 s1, s7
	s_cbranch_execz .LBB12_59
; %bb.58:
	v_mul_f32_e32 v4, v7, v7
	s_mov_b32 s2, 0x2f309231
	v_fmaak_f32 v5, s2, v4, 0xb2d7322b
	v_fmaak_f32 v5, v4, v5, 0x3638ef1d
	;; [unrolled: 1-line block ×5, first 2 shown]
	v_fma_f32 v4, v4, v5, 1.0
.LBB12_59:
	s_or_b32 exec_lo, exec_lo, s1
.LBB12_60:
	s_or_b32 exec_lo, exec_lo, s6
	s_or_b32 exec_lo, exec_lo, s5
	s_and_saveexec_b32 s1, s0
	s_xor_b32 s0, exec_lo, s1
	s_cbranch_execz .LBB12_46
.LBB12_61:
	v_mov_b32_e32 v7, 0
	v_mov_b32_e32 v0, v8
	v_lshlrev_b64 v[5:6], 2, v[6:7]
	v_add_co_u32 v5, vcc_lo, s8, v5
	v_add_co_ci_u32_e64 v6, null, s9, v6, vcc_lo
	global_store_dword v[5:6], v1, off
	s_or_b32 exec_lo, exec_lo, s0
	s_mov_b32 s0, exec_lo
	v_cmpx_gt_i32_e64 s4, v0
	s_cbranch_execz .LBB12_47
.LBB12_62:
	v_add_nc_u32_e32 v5, s3, v0
	v_mov_b32_e32 v6, 0
	v_add_nc_u32_e32 v0, 0x100, v0
	v_lshlrev_b64 v[5:6], 2, v[5:6]
	v_add_co_u32 v5, vcc_lo, s8, v5
	v_add_co_ci_u32_e64 v6, null, s9, v6, vcc_lo
	global_store_dword v[5:6], v2, off
	s_or_b32 exec_lo, exec_lo, s0
	s_mov_b32 s0, exec_lo
	v_cmpx_gt_i32_e64 s4, v0
	s_cbranch_execz .LBB12_48
.LBB12_63:
	v_add_nc_u32_e32 v1, s3, v0
	v_mov_b32_e32 v2, 0
	v_add_nc_u32_e32 v0, 0x100, v0
	v_lshlrev_b64 v[1:2], 2, v[1:2]
	v_add_co_u32 v1, vcc_lo, s8, v1
	v_add_co_ci_u32_e64 v2, null, s9, v2, vcc_lo
	global_store_dword v[1:2], v3, off
	s_or_b32 exec_lo, exec_lo, s0
	s_mov_b32 s0, exec_lo
	v_cmpx_gt_i32_e64 s4, v0
	s_cbranch_execz .LBB12_49
.LBB12_64:
	v_add_nc_u32_e32 v0, s3, v0
	v_mov_b32_e32 v1, 0
	v_lshlrev_b64 v[0:1], 2, v[0:1]
	v_add_co_u32 v0, vcc_lo, s8, v0
	v_add_co_ci_u32_e64 v1, null, s9, v1, vcc_lo
	global_store_dword v[0:1], v4, off
	s_endpgm
	.section	.rodata,"a",@progbits
	.p2align	6, 0x0
	.amdhsa_kernel _ZN2at6native27unrolled_elementwise_kernelIZZZNS0_12_GLOBAL__N_131spherical_bessel_j0_kernel_cudaERNS_18TensorIteratorBaseEENKUlvE_clEvENKUlvE0_clEvEUlfE_St5arrayIPcLm2EELi4E23TrivialOffsetCalculatorILi1EjESC_NS0_6memory15LoadWithoutCastENSD_16StoreWithoutCastEEEviT_T0_T2_T3_T4_T5_
		.amdhsa_group_segment_fixed_size 0
		.amdhsa_private_segment_fixed_size 0
		.amdhsa_kernarg_size 28
		.amdhsa_user_sgpr_count 6
		.amdhsa_user_sgpr_private_segment_buffer 1
		.amdhsa_user_sgpr_dispatch_ptr 0
		.amdhsa_user_sgpr_queue_ptr 0
		.amdhsa_user_sgpr_kernarg_segment_ptr 1
		.amdhsa_user_sgpr_dispatch_id 0
		.amdhsa_user_sgpr_flat_scratch_init 0
		.amdhsa_user_sgpr_private_segment_size 0
		.amdhsa_wavefront_size32 1
		.amdhsa_uses_dynamic_stack 0
		.amdhsa_system_sgpr_private_segment_wavefront_offset 0
		.amdhsa_system_sgpr_workgroup_id_x 1
		.amdhsa_system_sgpr_workgroup_id_y 0
		.amdhsa_system_sgpr_workgroup_id_z 0
		.amdhsa_system_sgpr_workgroup_info 0
		.amdhsa_system_vgpr_workitem_id 0
		.amdhsa_next_free_vgpr 22
		.amdhsa_next_free_sgpr 12
		.amdhsa_reserve_vcc 1
		.amdhsa_reserve_flat_scratch 0
		.amdhsa_float_round_mode_32 0
		.amdhsa_float_round_mode_16_64 0
		.amdhsa_float_denorm_mode_32 3
		.amdhsa_float_denorm_mode_16_64 3
		.amdhsa_dx10_clamp 1
		.amdhsa_ieee_mode 1
		.amdhsa_fp16_overflow 0
		.amdhsa_workgroup_processor_mode 1
		.amdhsa_memory_ordered 1
		.amdhsa_forward_progress 1
		.amdhsa_shared_vgpr_count 0
		.amdhsa_exception_fp_ieee_invalid_op 0
		.amdhsa_exception_fp_denorm_src 0
		.amdhsa_exception_fp_ieee_div_zero 0
		.amdhsa_exception_fp_ieee_overflow 0
		.amdhsa_exception_fp_ieee_underflow 0
		.amdhsa_exception_fp_ieee_inexact 0
		.amdhsa_exception_int_div_zero 0
	.end_amdhsa_kernel
	.section	.text._ZN2at6native27unrolled_elementwise_kernelIZZZNS0_12_GLOBAL__N_131spherical_bessel_j0_kernel_cudaERNS_18TensorIteratorBaseEENKUlvE_clEvENKUlvE0_clEvEUlfE_St5arrayIPcLm2EELi4E23TrivialOffsetCalculatorILi1EjESC_NS0_6memory15LoadWithoutCastENSD_16StoreWithoutCastEEEviT_T0_T2_T3_T4_T5_,"axG",@progbits,_ZN2at6native27unrolled_elementwise_kernelIZZZNS0_12_GLOBAL__N_131spherical_bessel_j0_kernel_cudaERNS_18TensorIteratorBaseEENKUlvE_clEvENKUlvE0_clEvEUlfE_St5arrayIPcLm2EELi4E23TrivialOffsetCalculatorILi1EjESC_NS0_6memory15LoadWithoutCastENSD_16StoreWithoutCastEEEviT_T0_T2_T3_T4_T5_,comdat
.Lfunc_end12:
	.size	_ZN2at6native27unrolled_elementwise_kernelIZZZNS0_12_GLOBAL__N_131spherical_bessel_j0_kernel_cudaERNS_18TensorIteratorBaseEENKUlvE_clEvENKUlvE0_clEvEUlfE_St5arrayIPcLm2EELi4E23TrivialOffsetCalculatorILi1EjESC_NS0_6memory15LoadWithoutCastENSD_16StoreWithoutCastEEEviT_T0_T2_T3_T4_T5_, .Lfunc_end12-_ZN2at6native27unrolled_elementwise_kernelIZZZNS0_12_GLOBAL__N_131spherical_bessel_j0_kernel_cudaERNS_18TensorIteratorBaseEENKUlvE_clEvENKUlvE0_clEvEUlfE_St5arrayIPcLm2EELi4E23TrivialOffsetCalculatorILi1EjESC_NS0_6memory15LoadWithoutCastENSD_16StoreWithoutCastEEEviT_T0_T2_T3_T4_T5_
                                        ; -- End function
	.set _ZN2at6native27unrolled_elementwise_kernelIZZZNS0_12_GLOBAL__N_131spherical_bessel_j0_kernel_cudaERNS_18TensorIteratorBaseEENKUlvE_clEvENKUlvE0_clEvEUlfE_St5arrayIPcLm2EELi4E23TrivialOffsetCalculatorILi1EjESC_NS0_6memory15LoadWithoutCastENSD_16StoreWithoutCastEEEviT_T0_T2_T3_T4_T5_.num_vgpr, 22
	.set _ZN2at6native27unrolled_elementwise_kernelIZZZNS0_12_GLOBAL__N_131spherical_bessel_j0_kernel_cudaERNS_18TensorIteratorBaseEENKUlvE_clEvENKUlvE0_clEvEUlfE_St5arrayIPcLm2EELi4E23TrivialOffsetCalculatorILi1EjESC_NS0_6memory15LoadWithoutCastENSD_16StoreWithoutCastEEEviT_T0_T2_T3_T4_T5_.num_agpr, 0
	.set _ZN2at6native27unrolled_elementwise_kernelIZZZNS0_12_GLOBAL__N_131spherical_bessel_j0_kernel_cudaERNS_18TensorIteratorBaseEENKUlvE_clEvENKUlvE0_clEvEUlfE_St5arrayIPcLm2EELi4E23TrivialOffsetCalculatorILi1EjESC_NS0_6memory15LoadWithoutCastENSD_16StoreWithoutCastEEEviT_T0_T2_T3_T4_T5_.numbered_sgpr, 12
	.set _ZN2at6native27unrolled_elementwise_kernelIZZZNS0_12_GLOBAL__N_131spherical_bessel_j0_kernel_cudaERNS_18TensorIteratorBaseEENKUlvE_clEvENKUlvE0_clEvEUlfE_St5arrayIPcLm2EELi4E23TrivialOffsetCalculatorILi1EjESC_NS0_6memory15LoadWithoutCastENSD_16StoreWithoutCastEEEviT_T0_T2_T3_T4_T5_.num_named_barrier, 0
	.set _ZN2at6native27unrolled_elementwise_kernelIZZZNS0_12_GLOBAL__N_131spherical_bessel_j0_kernel_cudaERNS_18TensorIteratorBaseEENKUlvE_clEvENKUlvE0_clEvEUlfE_St5arrayIPcLm2EELi4E23TrivialOffsetCalculatorILi1EjESC_NS0_6memory15LoadWithoutCastENSD_16StoreWithoutCastEEEviT_T0_T2_T3_T4_T5_.private_seg_size, 0
	.set _ZN2at6native27unrolled_elementwise_kernelIZZZNS0_12_GLOBAL__N_131spherical_bessel_j0_kernel_cudaERNS_18TensorIteratorBaseEENKUlvE_clEvENKUlvE0_clEvEUlfE_St5arrayIPcLm2EELi4E23TrivialOffsetCalculatorILi1EjESC_NS0_6memory15LoadWithoutCastENSD_16StoreWithoutCastEEEviT_T0_T2_T3_T4_T5_.uses_vcc, 1
	.set _ZN2at6native27unrolled_elementwise_kernelIZZZNS0_12_GLOBAL__N_131spherical_bessel_j0_kernel_cudaERNS_18TensorIteratorBaseEENKUlvE_clEvENKUlvE0_clEvEUlfE_St5arrayIPcLm2EELi4E23TrivialOffsetCalculatorILi1EjESC_NS0_6memory15LoadWithoutCastENSD_16StoreWithoutCastEEEviT_T0_T2_T3_T4_T5_.uses_flat_scratch, 0
	.set _ZN2at6native27unrolled_elementwise_kernelIZZZNS0_12_GLOBAL__N_131spherical_bessel_j0_kernel_cudaERNS_18TensorIteratorBaseEENKUlvE_clEvENKUlvE0_clEvEUlfE_St5arrayIPcLm2EELi4E23TrivialOffsetCalculatorILi1EjESC_NS0_6memory15LoadWithoutCastENSD_16StoreWithoutCastEEEviT_T0_T2_T3_T4_T5_.has_dyn_sized_stack, 0
	.set _ZN2at6native27unrolled_elementwise_kernelIZZZNS0_12_GLOBAL__N_131spherical_bessel_j0_kernel_cudaERNS_18TensorIteratorBaseEENKUlvE_clEvENKUlvE0_clEvEUlfE_St5arrayIPcLm2EELi4E23TrivialOffsetCalculatorILi1EjESC_NS0_6memory15LoadWithoutCastENSD_16StoreWithoutCastEEEviT_T0_T2_T3_T4_T5_.has_recursion, 0
	.set _ZN2at6native27unrolled_elementwise_kernelIZZZNS0_12_GLOBAL__N_131spherical_bessel_j0_kernel_cudaERNS_18TensorIteratorBaseEENKUlvE_clEvENKUlvE0_clEvEUlfE_St5arrayIPcLm2EELi4E23TrivialOffsetCalculatorILi1EjESC_NS0_6memory15LoadWithoutCastENSD_16StoreWithoutCastEEEviT_T0_T2_T3_T4_T5_.has_indirect_call, 0
	.section	.AMDGPU.csdata,"",@progbits
; Kernel info:
; codeLenInByte = 4676
; TotalNumSgprs: 14
; NumVgprs: 22
; ScratchSize: 0
; MemoryBound: 0
; FloatMode: 240
; IeeeMode: 1
; LDSByteSize: 0 bytes/workgroup (compile time only)
; SGPRBlocks: 0
; VGPRBlocks: 2
; NumSGPRsForWavesPerEU: 14
; NumVGPRsForWavesPerEU: 22
; Occupancy: 16
; WaveLimiterHint : 0
; COMPUTE_PGM_RSRC2:SCRATCH_EN: 0
; COMPUTE_PGM_RSRC2:USER_SGPR: 6
; COMPUTE_PGM_RSRC2:TRAP_HANDLER: 0
; COMPUTE_PGM_RSRC2:TGID_X_EN: 1
; COMPUTE_PGM_RSRC2:TGID_Y_EN: 0
; COMPUTE_PGM_RSRC2:TGID_Z_EN: 0
; COMPUTE_PGM_RSRC2:TIDIG_COMP_CNT: 0
	.section	.text._ZN2at6native32elementwise_kernel_manual_unrollILi128ELi4EZNS0_22gpu_kernel_impl_nocastIZZZNS0_12_GLOBAL__N_131spherical_bessel_j0_kernel_cudaERNS_18TensorIteratorBaseEENKUlvE_clEvENKUlvE0_clEvEUlfE_EEvS5_RKT_EUlibE_EEviT1_,"axG",@progbits,_ZN2at6native32elementwise_kernel_manual_unrollILi128ELi4EZNS0_22gpu_kernel_impl_nocastIZZZNS0_12_GLOBAL__N_131spherical_bessel_j0_kernel_cudaERNS_18TensorIteratorBaseEENKUlvE_clEvENKUlvE0_clEvEUlfE_EEvS5_RKT_EUlibE_EEviT1_,comdat
	.globl	_ZN2at6native32elementwise_kernel_manual_unrollILi128ELi4EZNS0_22gpu_kernel_impl_nocastIZZZNS0_12_GLOBAL__N_131spherical_bessel_j0_kernel_cudaERNS_18TensorIteratorBaseEENKUlvE_clEvENKUlvE0_clEvEUlfE_EEvS5_RKT_EUlibE_EEviT1_ ; -- Begin function _ZN2at6native32elementwise_kernel_manual_unrollILi128ELi4EZNS0_22gpu_kernel_impl_nocastIZZZNS0_12_GLOBAL__N_131spherical_bessel_j0_kernel_cudaERNS_18TensorIteratorBaseEENKUlvE_clEvENKUlvE0_clEvEUlfE_EEvS5_RKT_EUlibE_EEviT1_
	.p2align	8
	.type	_ZN2at6native32elementwise_kernel_manual_unrollILi128ELi4EZNS0_22gpu_kernel_impl_nocastIZZZNS0_12_GLOBAL__N_131spherical_bessel_j0_kernel_cudaERNS_18TensorIteratorBaseEENKUlvE_clEvENKUlvE0_clEvEUlfE_EEvS5_RKT_EUlibE_EEviT1_,@function
_ZN2at6native32elementwise_kernel_manual_unrollILi128ELi4EZNS0_22gpu_kernel_impl_nocastIZZZNS0_12_GLOBAL__N_131spherical_bessel_j0_kernel_cudaERNS_18TensorIteratorBaseEENKUlvE_clEvENKUlvE0_clEvEUlfE_EEvS5_RKT_EUlibE_EEviT1_: ; @_ZN2at6native32elementwise_kernel_manual_unrollILi128ELi4EZNS0_22gpu_kernel_impl_nocastIZZZNS0_12_GLOBAL__N_131spherical_bessel_j0_kernel_cudaERNS_18TensorIteratorBaseEENKUlvE_clEvENKUlvE0_clEvEUlfE_EEvS5_RKT_EUlibE_EEviT1_
; %bb.0:
	s_clause 0x1
	s_load_dword s22, s[4:5], 0x8
	s_load_dword s27, s[4:5], 0x0
	v_lshl_or_b32 v4, s6, 9, v0
	s_add_u32 s2, s4, 8
	s_addc_u32 s3, s5, 0
	s_mov_b32 s0, exec_lo
	v_or_b32_e32 v10, 0x180, v4
	s_waitcnt lgkmcnt(0)
	s_add_i32 s23, s22, -1
	s_cmp_gt_u32 s23, 1
	s_cselect_b32 s24, -1, 0
	v_cmpx_le_i32_e64 s27, v10
	s_xor_b32 s25, exec_lo, s0
	s_cbranch_execz .LBB13_7
; %bb.1:
	s_clause 0x3
	s_load_dwordx4 s[12:15], s[2:3], 0x4
	s_load_dwordx2 s[16:17], s[2:3], 0x14
	s_load_dwordx4 s[8:11], s[2:3], 0xc4
	s_load_dwordx4 s[4:7], s[2:3], 0x148
	s_cmp_lg_u32 s22, 0
	s_mov_b32 s30, exec_lo
	s_cselect_b32 s29, -1, 0
	s_add_u32 s18, s2, 0xc4
	s_addc_u32 s19, s3, 0
	s_min_u32 s28, s23, 15
	s_cmp_gt_u32 s22, 1
	s_cselect_b32 s26, -1, 0
	v_cmpx_gt_i32_e64 s27, v4
	s_cbranch_execz .LBB13_14
; %bb.2:
	s_andn2_b32 vcc_lo, exec_lo, s24
	s_cbranch_vccnz .LBB13_21
; %bb.3:
	s_andn2_b32 vcc_lo, exec_lo, s29
	s_cbranch_vccnz .LBB13_113
; %bb.4:
	s_add_i32 s33, s28, 1
	s_cmp_eq_u32 s23, 2
	s_cbranch_scc1 .LBB13_115
; %bb.5:
	v_mov_b32_e32 v2, 0
	v_mov_b32_e32 v0, 0
	v_mov_b32_e32 v1, v4
	s_and_b32 s31, s33, 28
	s_mov_b32 s34, 0
	s_mov_b64 s[0:1], s[2:3]
	s_mov_b64 s[20:21], s[18:19]
.LBB13_6:                               ; =>This Inner Loop Header: Depth=1
	s_clause 0x1
	s_load_dwordx8 s[36:43], s[0:1], 0x4
	s_load_dwordx4 s[52:55], s[0:1], 0x24
	s_load_dwordx8 s[44:51], s[20:21], 0x0
	s_add_u32 s0, s0, 48
	s_addc_u32 s1, s1, 0
	s_add_i32 s34, s34, 4
	s_add_u32 s20, s20, 32
	s_addc_u32 s21, s21, 0
	s_cmp_lg_u32 s31, s34
	s_waitcnt lgkmcnt(0)
	v_mul_hi_u32 v3, s37, v1
	v_add_nc_u32_e32 v3, v1, v3
	v_lshrrev_b32_e32 v3, s38, v3
	v_mul_hi_u32 v5, s40, v3
	v_mul_lo_u32 v7, v3, s36
	v_add_nc_u32_e32 v5, v3, v5
	v_sub_nc_u32_e32 v1, v1, v7
	v_lshrrev_b32_e32 v5, s41, v5
	v_mul_lo_u32 v7, v1, s44
	v_mul_lo_u32 v9, v1, s45
	v_mul_hi_u32 v6, s43, v5
	v_add_nc_u32_e32 v6, v5, v6
	v_lshrrev_b32_e32 v6, s52, v6
	v_mul_hi_u32 v8, s54, v6
	v_mul_lo_u32 v10, v6, s42
	v_add_nc_u32_e32 v1, v6, v8
	v_mul_lo_u32 v8, v5, s39
	v_sub_nc_u32_e32 v5, v5, v10
	v_lshrrev_b32_e32 v1, s55, v1
	v_mul_lo_u32 v10, v5, s48
	v_mul_lo_u32 v5, v5, s49
	v_sub_nc_u32_e32 v3, v3, v8
	v_mul_lo_u32 v11, v1, s53
	v_mul_lo_u32 v8, v3, s46
	;; [unrolled: 1-line block ×3, first 2 shown]
	v_sub_nc_u32_e32 v6, v6, v11
	v_add3_u32 v0, v7, v0, v8
	v_mul_lo_u32 v11, v6, s50
	v_mul_lo_u32 v6, v6, s51
	v_add3_u32 v2, v9, v2, v3
	v_add3_u32 v0, v10, v0, v11
	;; [unrolled: 1-line block ×3, first 2 shown]
	s_cbranch_scc1 .LBB13_6
	s_branch .LBB13_116
.LBB13_7:
	s_andn2_saveexec_b32 s0, s25
	s_cbranch_execz .LBB13_161
.LBB13_8:
	v_cndmask_b32_e64 v9, 0, 1, s24
	s_andn2_b32 vcc_lo, exec_lo, s24
	s_cbranch_vccnz .LBB13_20
; %bb.9:
	s_cmp_lg_u32 s22, 0
	s_waitcnt lgkmcnt(0)
	s_mov_b32 s6, 0
	s_cbranch_scc0 .LBB13_23
; %bb.10:
	s_min_u32 s8, s23, 15
	s_add_i32 s8, s8, 1
	s_cmp_eq_u32 s23, 2
	s_cbranch_scc1 .LBB13_24
; %bb.11:
	v_mov_b32_e32 v5, 0
	v_mov_b32_e32 v0, 0
	;; [unrolled: 1-line block ×3, first 2 shown]
	s_and_b32 s7, s8, 28
	s_add_u32 s0, s2, 0xc4
	s_addc_u32 s1, s3, 0
	s_mov_b32 s9, 0
	s_mov_b64 s[4:5], s[2:3]
.LBB13_12:                              ; =>This Inner Loop Header: Depth=1
	s_clause 0x1
	s_load_dwordx8 s[12:19], s[4:5], 0x4
	s_load_dwordx4 s[36:39], s[4:5], 0x24
	s_load_dwordx8 s[24:31], s[0:1], 0x0
	s_add_u32 s4, s4, 48
	s_addc_u32 s5, s5, 0
	s_add_i32 s9, s9, 4
	s_add_u32 s0, s0, 32
	s_addc_u32 s1, s1, 0
	s_cmp_lg_u32 s7, s9
	s_waitcnt lgkmcnt(0)
	v_mul_hi_u32 v2, s13, v1
	v_add_nc_u32_e32 v2, v1, v2
	v_lshrrev_b32_e32 v2, s14, v2
	v_mul_hi_u32 v3, s16, v2
	v_mul_lo_u32 v7, v2, s12
	v_add_nc_u32_e32 v3, v2, v3
	v_sub_nc_u32_e32 v1, v1, v7
	v_lshrrev_b32_e32 v3, s17, v3
	v_mul_lo_u32 v7, v1, s24
	v_mul_lo_u32 v11, v1, s25
	v_mul_hi_u32 v6, s19, v3
	v_add_nc_u32_e32 v6, v3, v6
	v_lshrrev_b32_e32 v6, s36, v6
	v_mul_hi_u32 v8, s38, v6
	v_mul_lo_u32 v12, v6, s18
	v_add_nc_u32_e32 v1, v6, v8
	v_mul_lo_u32 v8, v3, s15
	v_sub_nc_u32_e32 v3, v3, v12
	v_lshrrev_b32_e32 v1, s39, v1
	v_mul_lo_u32 v12, v3, s28
	v_mul_lo_u32 v3, v3, s29
	v_sub_nc_u32_e32 v2, v2, v8
	v_mul_lo_u32 v13, v1, s37
	v_mul_lo_u32 v8, v2, s26
	;; [unrolled: 1-line block ×3, first 2 shown]
	v_sub_nc_u32_e32 v6, v6, v13
	v_add3_u32 v0, v7, v0, v8
	v_mul_lo_u32 v13, v6, s30
	v_mul_lo_u32 v6, v6, s31
	v_add3_u32 v2, v11, v5, v2
	v_add3_u32 v0, v12, v0, v13
	;; [unrolled: 1-line block ×3, first 2 shown]
	s_cbranch_scc1 .LBB13_12
; %bb.13:
	s_and_b32 s8, s8, 3
	s_cmp_eq_u32 s8, 0
	s_cbranch_scc0 .LBB13_25
	s_branch .LBB13_27
.LBB13_14:
	s_or_b32 exec_lo, exec_lo, s30
	s_mov_b32 s30, exec_lo
	v_cmpx_gt_i32_e64 s27, v4
	s_cbranch_execz .LBB13_133
.LBB13_15:
	s_andn2_b32 vcc_lo, exec_lo, s24
	s_cbranch_vccnz .LBB13_22
; %bb.16:
	s_andn2_b32 vcc_lo, exec_lo, s29
	s_cbranch_vccnz .LBB13_114
; %bb.17:
	s_add_i32 s33, s28, 1
	s_cmp_eq_u32 s23, 2
	s_cbranch_scc1 .LBB13_141
; %bb.18:
	v_mov_b32_e32 v2, 0
	v_mov_b32_e32 v0, 0
	;; [unrolled: 1-line block ×3, first 2 shown]
	s_and_b32 s31, s33, 28
	s_mov_b32 s34, 0
	s_mov_b64 s[0:1], s[2:3]
	s_mov_b64 s[20:21], s[18:19]
.LBB13_19:                              ; =>This Inner Loop Header: Depth=1
	s_clause 0x1
	s_load_dwordx8 s[36:43], s[0:1], 0x4
	s_load_dwordx4 s[52:55], s[0:1], 0x24
	s_load_dwordx8 s[44:51], s[20:21], 0x0
	s_add_u32 s0, s0, 48
	s_addc_u32 s1, s1, 0
	s_add_i32 s34, s34, 4
	s_add_u32 s20, s20, 32
	s_addc_u32 s21, s21, 0
	s_cmp_eq_u32 s31, s34
	s_waitcnt lgkmcnt(0)
	v_mul_hi_u32 v3, s37, v1
	v_add_nc_u32_e32 v3, v1, v3
	v_lshrrev_b32_e32 v3, s38, v3
	v_mul_hi_u32 v5, s40, v3
	v_mul_lo_u32 v7, v3, s36
	v_add_nc_u32_e32 v5, v3, v5
	v_sub_nc_u32_e32 v1, v1, v7
	v_lshrrev_b32_e32 v5, s41, v5
	v_mul_lo_u32 v7, v1, s44
	v_mul_lo_u32 v9, v1, s45
	v_mul_hi_u32 v6, s43, v5
	v_add_nc_u32_e32 v6, v5, v6
	v_lshrrev_b32_e32 v6, s52, v6
	v_mul_hi_u32 v8, s54, v6
	v_mul_lo_u32 v10, v6, s42
	v_add_nc_u32_e32 v1, v6, v8
	v_mul_lo_u32 v8, v5, s39
	v_sub_nc_u32_e32 v5, v5, v10
	v_lshrrev_b32_e32 v1, s55, v1
	v_mul_lo_u32 v10, v5, s48
	v_mul_lo_u32 v5, v5, s49
	v_sub_nc_u32_e32 v3, v3, v8
	v_mul_lo_u32 v11, v1, s53
	v_mul_lo_u32 v8, v3, s46
	;; [unrolled: 1-line block ×3, first 2 shown]
	v_sub_nc_u32_e32 v6, v6, v11
	v_add3_u32 v0, v7, v0, v8
	v_mul_lo_u32 v11, v6, s50
	v_mul_lo_u32 v6, v6, s51
	v_add3_u32 v2, v9, v2, v3
	v_add3_u32 v0, v10, v0, v11
	;; [unrolled: 1-line block ×3, first 2 shown]
	s_cbranch_scc0 .LBB13_19
	s_branch .LBB13_142
.LBB13_20:
	s_waitcnt lgkmcnt(0)
	s_mov_b32 s6, -1
                                        ; implicit-def: $vgpr0
                                        ; implicit-def: $vgpr5
	s_branch .LBB13_27
.LBB13_21:
                                        ; implicit-def: $vgpr0
                                        ; implicit-def: $vgpr2
	s_branch .LBB13_120
.LBB13_22:
                                        ; implicit-def: $vgpr0
                                        ; implicit-def: $vgpr2
	s_branch .LBB13_146
.LBB13_23:
	v_mov_b32_e32 v0, 0
	v_mov_b32_e32 v5, 0
	s_branch .LBB13_27
.LBB13_24:
	v_mov_b32_e32 v0, 0
	v_mov_b32_e32 v5, 0
	;; [unrolled: 1-line block ×3, first 2 shown]
	s_mov_b32 s7, 0
	s_and_b32 s8, s8, 3
	s_cmp_eq_u32 s8, 0
	s_cbranch_scc1 .LBB13_27
.LBB13_25:
	s_lshl_b32 s0, s7, 3
	s_mul_i32 s4, s7, 12
	s_add_u32 s0, s2, s0
	s_addc_u32 s1, s3, 0
	s_add_u32 s0, s0, 0xc4
	s_addc_u32 s1, s1, 0
	;; [unrolled: 2-line block ×3, first 2 shown]
	.p2align	6
.LBB13_26:                              ; =>This Inner Loop Header: Depth=1
	s_clause 0x1
	s_load_dwordx2 s[10:11], s[4:5], 0x4
	s_load_dword s7, s[4:5], 0xc
	s_load_dwordx2 s[12:13], s[0:1], 0x0
	s_add_u32 s4, s4, 12
	s_addc_u32 s5, s5, 0
	s_add_u32 s0, s0, 8
	s_addc_u32 s1, s1, 0
	s_add_i32 s8, s8, -1
	s_cmp_lg_u32 s8, 0
	s_waitcnt lgkmcnt(0)
	v_mul_hi_u32 v2, s11, v1
	v_add_nc_u32_e32 v2, v1, v2
	v_lshrrev_b32_e32 v2, s7, v2
	v_mul_lo_u32 v3, v2, s10
	v_sub_nc_u32_e32 v3, v1, v3
	v_mad_u64_u32 v[0:1], null, v3, s12, v[0:1]
	v_mad_u64_u32 v[5:6], null, v3, s13, v[5:6]
	v_mov_b32_e32 v1, v2
	s_cbranch_scc1 .LBB13_26
.LBB13_27:
	s_andn2_b32 vcc_lo, exec_lo, s6
	s_cbranch_vccnz .LBB13_30
; %bb.28:
	s_clause 0x1
	s_load_dwordx4 s[4:7], s[2:3], 0x4
	s_load_dwordx2 s[0:1], s[2:3], 0xc4
	s_cmp_lt_u32 s22, 2
	s_waitcnt lgkmcnt(0)
	v_mul_hi_u32 v0, s5, v4
	v_add_nc_u32_e32 v0, v4, v0
	v_lshrrev_b32_e32 v1, s6, v0
	v_mul_lo_u32 v0, v1, s4
	v_sub_nc_u32_e32 v2, v4, v0
	v_mul_lo_u32 v0, v2, s0
	v_mul_lo_u32 v5, v2, s1
	s_cbranch_scc1 .LBB13_30
; %bb.29:
	s_clause 0x1
	s_load_dwordx4 s[4:7], s[2:3], 0x10
	s_load_dwordx2 s[0:1], s[2:3], 0xcc
	s_waitcnt lgkmcnt(0)
	v_mul_hi_u32 v2, s5, v1
	v_add_nc_u32_e32 v2, v1, v2
	v_lshrrev_b32_e32 v2, s6, v2
	v_mul_lo_u32 v2, v2, s4
	v_sub_nc_u32_e32 v2, v1, v2
	v_mad_u64_u32 v[0:1], null, v2, s0, v[0:1]
	v_mad_u64_u32 v[5:6], null, v2, s1, v[5:6]
.LBB13_30:
	v_cmp_ne_u32_e32 vcc_lo, 1, v9
	v_add_nc_u32_e32 v3, 0x80, v4
	s_cbranch_vccnz .LBB13_36
; %bb.31:
	s_cmp_lg_u32 s22, 0
	s_mov_b32 s6, 0
	s_cbranch_scc0 .LBB13_37
; %bb.32:
	s_min_u32 s8, s23, 15
	s_add_i32 s8, s8, 1
	s_cmp_eq_u32 s23, 2
	s_cbranch_scc1 .LBB13_38
; %bb.33:
	v_mov_b32_e32 v6, 0
	v_mov_b32_e32 v1, 0
	;; [unrolled: 1-line block ×3, first 2 shown]
	s_and_b32 s7, s8, 28
	s_add_u32 s0, s2, 0xc4
	s_addc_u32 s1, s3, 0
	s_mov_b32 s9, 0
	s_mov_b64 s[4:5], s[2:3]
.LBB13_34:                              ; =>This Inner Loop Header: Depth=1
	s_clause 0x1
	s_load_dwordx8 s[12:19], s[4:5], 0x4
	s_load_dwordx4 s[36:39], s[4:5], 0x24
	s_load_dwordx8 s[24:31], s[0:1], 0x0
	s_add_u32 s4, s4, 48
	s_addc_u32 s5, s5, 0
	s_add_i32 s9, s9, 4
	s_add_u32 s0, s0, 32
	s_addc_u32 s1, s1, 0
	s_cmp_lg_u32 s7, s9
	s_waitcnt lgkmcnt(0)
	v_mul_hi_u32 v7, s13, v2
	v_add_nc_u32_e32 v7, v2, v7
	v_lshrrev_b32_e32 v7, s14, v7
	v_mul_hi_u32 v8, s16, v7
	v_mul_lo_u32 v12, v7, s12
	v_add_nc_u32_e32 v8, v7, v8
	v_sub_nc_u32_e32 v2, v2, v12
	v_lshrrev_b32_e32 v8, s17, v8
	v_mul_lo_u32 v12, v2, s24
	v_mul_lo_u32 v14, v2, s25
	v_mul_hi_u32 v11, s19, v8
	v_add_nc_u32_e32 v11, v8, v11
	v_lshrrev_b32_e32 v11, s36, v11
	v_mul_hi_u32 v13, s38, v11
	v_mul_lo_u32 v15, v11, s18
	v_add_nc_u32_e32 v2, v11, v13
	v_mul_lo_u32 v13, v8, s15
	v_sub_nc_u32_e32 v8, v8, v15
	v_lshrrev_b32_e32 v2, s39, v2
	v_mul_lo_u32 v15, v8, s28
	v_mul_lo_u32 v8, v8, s29
	v_sub_nc_u32_e32 v7, v7, v13
	v_mul_lo_u32 v16, v2, s37
	v_mul_lo_u32 v13, v7, s26
	;; [unrolled: 1-line block ×3, first 2 shown]
	v_sub_nc_u32_e32 v11, v11, v16
	v_add3_u32 v1, v12, v1, v13
	v_mul_lo_u32 v16, v11, s30
	v_mul_lo_u32 v11, v11, s31
	v_add3_u32 v6, v14, v6, v7
	v_add3_u32 v1, v15, v1, v16
	;; [unrolled: 1-line block ×3, first 2 shown]
	s_cbranch_scc1 .LBB13_34
; %bb.35:
	s_and_b32 s8, s8, 3
	s_cmp_eq_u32 s8, 0
	s_cbranch_scc0 .LBB13_39
	s_branch .LBB13_41
.LBB13_36:
	s_mov_b32 s6, -1
                                        ; implicit-def: $vgpr1
                                        ; implicit-def: $vgpr6
	s_branch .LBB13_41
.LBB13_37:
	v_mov_b32_e32 v1, 0
	v_mov_b32_e32 v6, 0
	s_branch .LBB13_41
.LBB13_38:
	v_mov_b32_e32 v1, 0
	v_mov_b32_e32 v6, 0
	;; [unrolled: 1-line block ×3, first 2 shown]
	s_mov_b32 s7, 0
	s_and_b32 s8, s8, 3
	s_cmp_eq_u32 s8, 0
	s_cbranch_scc1 .LBB13_41
.LBB13_39:
	s_lshl_b32 s0, s7, 3
	s_mul_i32 s4, s7, 12
	s_add_u32 s0, s2, s0
	s_addc_u32 s1, s3, 0
	s_add_u32 s0, s0, 0xc4
	s_addc_u32 s1, s1, 0
	;; [unrolled: 2-line block ×3, first 2 shown]
	.p2align	6
.LBB13_40:                              ; =>This Inner Loop Header: Depth=1
	s_clause 0x1
	s_load_dwordx2 s[10:11], s[4:5], 0x4
	s_load_dword s7, s[4:5], 0xc
	s_load_dwordx2 s[12:13], s[0:1], 0x0
	s_add_u32 s4, s4, 12
	s_addc_u32 s5, s5, 0
	s_add_u32 s0, s0, 8
	s_addc_u32 s1, s1, 0
	s_add_i32 s8, s8, -1
	s_cmp_lg_u32 s8, 0
	s_waitcnt lgkmcnt(0)
	v_mul_hi_u32 v7, s11, v2
	v_add_nc_u32_e32 v7, v2, v7
	v_lshrrev_b32_e32 v8, s7, v7
	v_mul_lo_u32 v7, v8, s10
	v_sub_nc_u32_e32 v7, v2, v7
	v_mad_u64_u32 v[1:2], null, v7, s12, v[1:2]
	v_mad_u64_u32 v[6:7], null, v7, s13, v[6:7]
	v_mov_b32_e32 v2, v8
	s_cbranch_scc1 .LBB13_40
.LBB13_41:
	s_andn2_b32 vcc_lo, exec_lo, s6
	s_cbranch_vccnz .LBB13_44
; %bb.42:
	s_clause 0x1
	s_load_dwordx4 s[4:7], s[2:3], 0x4
	s_load_dwordx2 s[0:1], s[2:3], 0xc4
	s_cmp_lt_u32 s22, 2
	s_waitcnt lgkmcnt(0)
	v_mul_hi_u32 v1, s5, v3
	v_add_nc_u32_e32 v1, v3, v1
	v_lshrrev_b32_e32 v2, s6, v1
	v_mul_lo_u32 v1, v2, s4
	v_sub_nc_u32_e32 v3, v3, v1
	v_mul_lo_u32 v1, v3, s0
	v_mul_lo_u32 v6, v3, s1
	s_cbranch_scc1 .LBB13_44
; %bb.43:
	s_clause 0x1
	s_load_dwordx4 s[4:7], s[2:3], 0x10
	s_load_dwordx2 s[0:1], s[2:3], 0xcc
	s_waitcnt lgkmcnt(0)
	v_mul_hi_u32 v3, s5, v2
	v_add_nc_u32_e32 v3, v2, v3
	v_lshrrev_b32_e32 v3, s6, v3
	v_mul_lo_u32 v3, v3, s4
	v_sub_nc_u32_e32 v3, v2, v3
	v_mad_u64_u32 v[1:2], null, v3, s0, v[1:2]
	v_mad_u64_u32 v[6:7], null, v3, s1, v[6:7]
.LBB13_44:
	v_cmp_ne_u32_e32 vcc_lo, 1, v9
	v_add_nc_u32_e32 v4, 0x100, v4
	s_cbranch_vccnz .LBB13_50
; %bb.45:
	s_cmp_lg_u32 s22, 0
	s_mov_b32 s6, 0
	s_cbranch_scc0 .LBB13_51
; %bb.46:
	s_min_u32 s8, s23, 15
	s_add_i32 s8, s8, 1
	s_cmp_eq_u32 s23, 2
	s_cbranch_scc1 .LBB13_52
; %bb.47:
	v_mov_b32_e32 v7, 0
	v_mov_b32_e32 v2, 0
	;; [unrolled: 1-line block ×3, first 2 shown]
	s_and_b32 s7, s8, 28
	s_add_u32 s0, s2, 0xc4
	s_addc_u32 s1, s3, 0
	s_mov_b32 s9, 0
	s_mov_b64 s[4:5], s[2:3]
.LBB13_48:                              ; =>This Inner Loop Header: Depth=1
	s_clause 0x1
	s_load_dwordx8 s[12:19], s[4:5], 0x4
	s_load_dwordx4 s[36:39], s[4:5], 0x24
	s_load_dwordx8 s[24:31], s[0:1], 0x0
	s_add_u32 s4, s4, 48
	s_addc_u32 s5, s5, 0
	s_add_i32 s9, s9, 4
	s_add_u32 s0, s0, 32
	s_addc_u32 s1, s1, 0
	s_cmp_lg_u32 s7, s9
	s_waitcnt lgkmcnt(0)
	v_mul_hi_u32 v8, s13, v3
	v_add_nc_u32_e32 v8, v3, v8
	v_lshrrev_b32_e32 v8, s14, v8
	v_mul_hi_u32 v11, s16, v8
	v_mul_lo_u32 v13, v8, s12
	v_add_nc_u32_e32 v11, v8, v11
	v_sub_nc_u32_e32 v3, v3, v13
	v_lshrrev_b32_e32 v11, s17, v11
	v_mul_lo_u32 v13, v3, s24
	v_mul_lo_u32 v15, v3, s25
	v_mul_hi_u32 v12, s19, v11
	v_add_nc_u32_e32 v12, v11, v12
	v_lshrrev_b32_e32 v12, s36, v12
	v_mul_hi_u32 v14, s38, v12
	v_mul_lo_u32 v16, v12, s18
	v_add_nc_u32_e32 v3, v12, v14
	v_mul_lo_u32 v14, v11, s15
	v_sub_nc_u32_e32 v11, v11, v16
	v_lshrrev_b32_e32 v3, s39, v3
	v_mul_lo_u32 v16, v11, s28
	v_mul_lo_u32 v11, v11, s29
	v_sub_nc_u32_e32 v8, v8, v14
	v_mul_lo_u32 v17, v3, s37
	v_mul_lo_u32 v14, v8, s26
	;; [unrolled: 1-line block ×3, first 2 shown]
	v_sub_nc_u32_e32 v12, v12, v17
	v_add3_u32 v2, v13, v2, v14
	v_mul_lo_u32 v17, v12, s30
	v_mul_lo_u32 v12, v12, s31
	v_add3_u32 v7, v15, v7, v8
	v_add3_u32 v2, v16, v2, v17
	v_add3_u32 v7, v11, v7, v12
	s_cbranch_scc1 .LBB13_48
; %bb.49:
	s_and_b32 s8, s8, 3
	s_cmp_eq_u32 s8, 0
	s_cbranch_scc0 .LBB13_53
	s_branch .LBB13_55
.LBB13_50:
	s_mov_b32 s6, -1
                                        ; implicit-def: $vgpr2
                                        ; implicit-def: $vgpr7
	s_branch .LBB13_55
.LBB13_51:
	v_mov_b32_e32 v2, 0
	v_mov_b32_e32 v7, 0
	s_branch .LBB13_55
.LBB13_52:
	v_mov_b32_e32 v2, 0
	v_mov_b32_e32 v7, 0
	;; [unrolled: 1-line block ×3, first 2 shown]
	s_mov_b32 s7, 0
	s_and_b32 s8, s8, 3
	s_cmp_eq_u32 s8, 0
	s_cbranch_scc1 .LBB13_55
.LBB13_53:
	s_lshl_b32 s0, s7, 3
	s_mul_i32 s4, s7, 12
	s_add_u32 s0, s2, s0
	s_addc_u32 s1, s3, 0
	s_add_u32 s0, s0, 0xc4
	s_addc_u32 s1, s1, 0
	;; [unrolled: 2-line block ×3, first 2 shown]
	.p2align	6
.LBB13_54:                              ; =>This Inner Loop Header: Depth=1
	s_clause 0x1
	s_load_dwordx2 s[10:11], s[4:5], 0x4
	s_load_dword s7, s[4:5], 0xc
	s_load_dwordx2 s[12:13], s[0:1], 0x0
	s_add_u32 s4, s4, 12
	s_addc_u32 s5, s5, 0
	s_add_u32 s0, s0, 8
	s_addc_u32 s1, s1, 0
	s_add_i32 s8, s8, -1
	s_cmp_lg_u32 s8, 0
	s_waitcnt lgkmcnt(0)
	v_mul_hi_u32 v8, s11, v3
	v_add_nc_u32_e32 v8, v3, v8
	v_lshrrev_b32_e32 v11, s7, v8
	v_mul_lo_u32 v8, v11, s10
	v_sub_nc_u32_e32 v8, v3, v8
	v_mad_u64_u32 v[2:3], null, v8, s12, v[2:3]
	v_mad_u64_u32 v[7:8], null, v8, s13, v[7:8]
	v_mov_b32_e32 v3, v11
	s_cbranch_scc1 .LBB13_54
.LBB13_55:
	s_andn2_b32 vcc_lo, exec_lo, s6
	s_cbranch_vccnz .LBB13_58
; %bb.56:
	s_clause 0x1
	s_load_dwordx4 s[4:7], s[2:3], 0x4
	s_load_dwordx2 s[0:1], s[2:3], 0xc4
	s_cmp_lt_u32 s22, 2
	s_waitcnt lgkmcnt(0)
	v_mul_hi_u32 v2, s5, v4
	v_add_nc_u32_e32 v2, v4, v2
	v_lshrrev_b32_e32 v3, s6, v2
	v_mul_lo_u32 v2, v3, s4
	v_sub_nc_u32_e32 v4, v4, v2
	v_mul_lo_u32 v2, v4, s0
	v_mul_lo_u32 v7, v4, s1
	s_cbranch_scc1 .LBB13_58
; %bb.57:
	s_clause 0x1
	s_load_dwordx4 s[4:7], s[2:3], 0x10
	s_load_dwordx2 s[0:1], s[2:3], 0xcc
	s_waitcnt lgkmcnt(0)
	v_mul_hi_u32 v4, s5, v3
	v_add_nc_u32_e32 v4, v3, v4
	v_lshrrev_b32_e32 v4, s6, v4
	v_mul_lo_u32 v4, v4, s4
	v_sub_nc_u32_e32 v4, v3, v4
	v_mad_u64_u32 v[2:3], null, v4, s0, v[2:3]
	v_mad_u64_u32 v[7:8], null, v4, s1, v[7:8]
.LBB13_58:
	v_cmp_ne_u32_e32 vcc_lo, 1, v9
	s_cbranch_vccnz .LBB13_64
; %bb.59:
	s_cmp_lg_u32 s22, 0
	s_mov_b32 s6, 0
	s_cbranch_scc0 .LBB13_65
; %bb.60:
	s_min_u32 s8, s23, 15
	s_add_i32 s8, s8, 1
	s_cmp_eq_u32 s23, 2
	s_cbranch_scc1 .LBB13_66
; %bb.61:
	v_mov_b32_e32 v8, 0
	v_mov_b32_e32 v3, 0
	;; [unrolled: 1-line block ×3, first 2 shown]
	s_and_b32 s7, s8, 28
	s_add_u32 s0, s2, 0xc4
	s_addc_u32 s1, s3, 0
	s_mov_b32 s9, 0
	s_mov_b64 s[4:5], s[2:3]
.LBB13_62:                              ; =>This Inner Loop Header: Depth=1
	s_clause 0x1
	s_load_dwordx8 s[12:19], s[4:5], 0x4
	s_load_dwordx4 s[36:39], s[4:5], 0x24
	s_load_dwordx8 s[24:31], s[0:1], 0x0
	s_add_u32 s4, s4, 48
	s_addc_u32 s5, s5, 0
	s_add_i32 s9, s9, 4
	s_add_u32 s0, s0, 32
	s_addc_u32 s1, s1, 0
	s_cmp_lg_u32 s7, s9
	s_waitcnt lgkmcnt(0)
	v_mul_hi_u32 v9, s13, v4
	v_add_nc_u32_e32 v9, v4, v9
	v_lshrrev_b32_e32 v9, s14, v9
	v_mul_hi_u32 v11, s16, v9
	v_mul_lo_u32 v13, v9, s12
	v_add_nc_u32_e32 v11, v9, v11
	v_sub_nc_u32_e32 v4, v4, v13
	v_lshrrev_b32_e32 v11, s17, v11
	v_mul_lo_u32 v13, v4, s24
	v_mul_lo_u32 v15, v4, s25
	v_mul_hi_u32 v12, s19, v11
	v_add_nc_u32_e32 v12, v11, v12
	v_lshrrev_b32_e32 v12, s36, v12
	v_mul_hi_u32 v14, s38, v12
	v_mul_lo_u32 v16, v12, s18
	v_add_nc_u32_e32 v4, v12, v14
	v_mul_lo_u32 v14, v11, s15
	v_sub_nc_u32_e32 v11, v11, v16
	v_lshrrev_b32_e32 v4, s39, v4
	v_mul_lo_u32 v16, v11, s28
	v_mul_lo_u32 v11, v11, s29
	v_sub_nc_u32_e32 v9, v9, v14
	v_mul_lo_u32 v17, v4, s37
	v_mul_lo_u32 v14, v9, s26
	;; [unrolled: 1-line block ×3, first 2 shown]
	v_sub_nc_u32_e32 v12, v12, v17
	v_add3_u32 v3, v13, v3, v14
	v_mul_lo_u32 v17, v12, s30
	v_mul_lo_u32 v12, v12, s31
	v_add3_u32 v8, v15, v8, v9
	v_add3_u32 v3, v16, v3, v17
	;; [unrolled: 1-line block ×3, first 2 shown]
	s_cbranch_scc1 .LBB13_62
; %bb.63:
	s_and_b32 s8, s8, 3
	s_cmp_eq_u32 s8, 0
	s_cbranch_scc0 .LBB13_67
	s_branch .LBB13_69
.LBB13_64:
	s_mov_b32 s6, -1
                                        ; implicit-def: $vgpr3
                                        ; implicit-def: $vgpr8
	s_branch .LBB13_69
.LBB13_65:
	v_mov_b32_e32 v3, 0
	v_mov_b32_e32 v8, 0
	s_branch .LBB13_69
.LBB13_66:
	v_mov_b32_e32 v3, 0
	v_mov_b32_e32 v8, 0
	;; [unrolled: 1-line block ×3, first 2 shown]
	s_mov_b32 s7, 0
	s_and_b32 s8, s8, 3
	s_cmp_eq_u32 s8, 0
	s_cbranch_scc1 .LBB13_69
.LBB13_67:
	s_lshl_b32 s0, s7, 3
	s_mul_i32 s4, s7, 12
	s_add_u32 s0, s2, s0
	s_addc_u32 s1, s3, 0
	s_add_u32 s0, s0, 0xc4
	s_addc_u32 s1, s1, 0
	;; [unrolled: 2-line block ×3, first 2 shown]
	.p2align	6
.LBB13_68:                              ; =>This Inner Loop Header: Depth=1
	s_clause 0x1
	s_load_dwordx2 s[10:11], s[4:5], 0x4
	s_load_dword s7, s[4:5], 0xc
	s_load_dwordx2 s[12:13], s[0:1], 0x0
	s_add_u32 s4, s4, 12
	s_addc_u32 s5, s5, 0
	s_add_u32 s0, s0, 8
	s_addc_u32 s1, s1, 0
	s_add_i32 s8, s8, -1
	s_cmp_lg_u32 s8, 0
	s_waitcnt lgkmcnt(0)
	v_mul_hi_u32 v9, s11, v4
	v_add_nc_u32_e32 v9, v4, v9
	v_lshrrev_b32_e32 v11, s7, v9
	v_mul_lo_u32 v9, v11, s10
	v_sub_nc_u32_e32 v9, v4, v9
	v_mad_u64_u32 v[3:4], null, v9, s12, v[3:4]
	v_mad_u64_u32 v[8:9], null, v9, s13, v[8:9]
	v_mov_b32_e32 v4, v11
	s_cbranch_scc1 .LBB13_68
.LBB13_69:
	s_andn2_b32 vcc_lo, exec_lo, s6
	s_cbranch_vccnz .LBB13_72
; %bb.70:
	s_clause 0x1
	s_load_dwordx4 s[4:7], s[2:3], 0x4
	s_load_dwordx2 s[0:1], s[2:3], 0xc4
	s_cmp_lt_u32 s22, 2
	s_waitcnt lgkmcnt(0)
	v_mul_hi_u32 v3, s5, v10
	v_add_nc_u32_e32 v3, v10, v3
	v_lshrrev_b32_e32 v4, s6, v3
	v_mul_lo_u32 v3, v4, s4
	v_sub_nc_u32_e32 v8, v10, v3
	v_mul_lo_u32 v3, v8, s0
	v_mul_lo_u32 v8, v8, s1
	s_cbranch_scc1 .LBB13_72
; %bb.71:
	s_clause 0x1
	s_load_dwordx4 s[4:7], s[2:3], 0x10
	s_load_dwordx2 s[0:1], s[2:3], 0xcc
	s_waitcnt lgkmcnt(0)
	v_mul_hi_u32 v9, s5, v4
	v_add_nc_u32_e32 v9, v4, v9
	v_lshrrev_b32_e32 v9, s6, v9
	v_mul_lo_u32 v9, v9, s4
	v_sub_nc_u32_e32 v9, v4, v9
	v_mad_u64_u32 v[3:4], null, v9, s0, v[3:4]
	v_mad_u64_u32 v[8:9], null, v9, s1, v[8:9]
.LBB13_72:
	s_load_dwordx4 s[4:7], s[2:3], 0x148
	v_mov_b32_e32 v4, 0
	s_mov_b32 s2, exec_lo
	s_waitcnt lgkmcnt(0)
	global_load_dword v9, v5, s[6:7]
	v_mov_b32_e32 v5, 0
	s_waitcnt vmcnt(0)
	v_cmpx_neq_f32_e64 0x7f800000, |v9|
	s_cbranch_execz .LBB13_82
; %bb.73:
                                        ; implicit-def: $vgpr5
	s_mov_b32 s1, exec_lo
	v_cmpx_nlt_f32_e64 |v9|, 0.5
	s_xor_b32 s3, exec_lo, s1
	s_cbranch_execz .LBB13_79
; %bb.74:
	v_and_b32_e32 v5, 0x7fffffff, v9
                                        ; implicit-def: $vgpr11
                                        ; implicit-def: $vgpr10
	s_mov_b32 s1, exec_lo
	v_cmpx_ngt_f32_e64 0x48000000, |v9|
	s_xor_b32 s8, exec_lo, s1
	s_cbranch_execz .LBB13_76
; %bb.75:
	s_mov_b32 s0, 0x7fffff
	v_mov_b32_e32 v12, 0
	v_and_or_b32 v19, v5, s0, 0x800000
	v_lshrrev_b32_e32 v17, 23, v5
	v_mad_u64_u32 v[10:11], null, 0xfe5163ab, v19, 0
	v_add_nc_u32_e32 v18, 0xffffff88, v17
	v_cmp_lt_u32_e32 vcc_lo, 63, v18
	v_mad_u64_u32 v[13:14], null, 0x3c439041, v19, v[11:12]
	v_cndmask_b32_e64 v20, 0, 0xffffffc0, vcc_lo
	v_mov_b32_e32 v11, v14
	v_add_nc_u32_e32 v20, v20, v18
	v_mad_u64_u32 v[14:15], null, 0xdb629599, v19, v[11:12]
	v_cmp_lt_u32_e64 s0, 31, v20
	v_cndmask_b32_e64 v21, 0, 0xffffffe0, s0
	v_mov_b32_e32 v11, v15
	v_cndmask_b32_e32 v10, v14, v10, vcc_lo
	v_mad_u64_u32 v[15:16], null, 0xf534ddc0, v19, v[11:12]
	v_mov_b32_e32 v11, v16
	v_cndmask_b32_e32 v13, v15, v13, vcc_lo
	v_mad_u64_u32 v[16:17], null, 0xfc2757d1, v19, v[11:12]
	v_cndmask_b32_e64 v10, v13, v10, s0
	v_mov_b32_e32 v11, v17
	v_mad_u64_u32 v[17:18], null, 0x4e441529, v19, v[11:12]
	v_mov_b32_e32 v11, v18
	v_add_nc_u32_e32 v18, v21, v20
	v_cndmask_b32_e32 v20, v17, v15, vcc_lo
	v_mad_u64_u32 v[11:12], null, 0xa2f9836e, v19, v[11:12]
	v_cmp_lt_u32_e64 s1, 31, v18
	v_cndmask_b32_e64 v19, 0, 0xffffffe0, s1
	v_cndmask_b32_e32 v11, v11, v16, vcc_lo
	v_cndmask_b32_e32 v12, v12, v17, vcc_lo
	;; [unrolled: 1-line block ×3, first 2 shown]
	v_add_nc_u32_e32 v17, v19, v18
	v_cndmask_b32_e64 v15, v11, v20, s0
	v_cndmask_b32_e64 v11, v12, v11, s0
	;; [unrolled: 1-line block ×4, first 2 shown]
	v_sub_nc_u32_e32 v18, 32, v17
	v_cmp_eq_u32_e32 vcc_lo, 0, v17
	v_cndmask_b32_e64 v11, v11, v15, s1
	v_cndmask_b32_e64 v15, v15, v12, s1
	;; [unrolled: 1-line block ×4, first 2 shown]
	v_alignbit_b32 v19, v11, v15, v18
	v_alignbit_b32 v14, v15, v12, v18
	;; [unrolled: 1-line block ×3, first 2 shown]
	v_cndmask_b32_e32 v11, v19, v11, vcc_lo
	v_cndmask_b32_e32 v13, v14, v15, vcc_lo
	;; [unrolled: 1-line block ×3, first 2 shown]
	v_bfe_u32 v14, v11, 29, 1
	v_alignbit_b32 v15, v11, v13, 30
	v_alignbit_b32 v13, v13, v12, 30
	v_alignbit_b32 v10, v12, v10, 30
	v_sub_nc_u32_e32 v16, 0, v14
	v_xor_b32_e32 v15, v15, v16
	v_xor_b32_e32 v12, v13, v16
	;; [unrolled: 1-line block ×3, first 2 shown]
	v_lshrrev_b32_e32 v16, 29, v11
	v_lshrrev_b32_e32 v11, 30, v11
	v_ffbh_u32_e32 v17, v15
	v_add_nc_u32_e32 v11, v14, v11
	v_min_u32_e32 v17, 32, v17
	v_sub_nc_u32_e32 v13, 31, v17
	v_lshlrev_b32_e32 v18, 23, v17
	v_alignbit_b32 v15, v15, v12, v13
	v_alignbit_b32 v10, v12, v10, v13
	v_lshlrev_b32_e32 v12, 31, v16
	v_alignbit_b32 v13, v15, v10, 9
	v_or_b32_e32 v16, 0.5, v12
	v_lshrrev_b32_e32 v15, 9, v15
	v_or_b32_e32 v12, 0x33000000, v12
	v_ffbh_u32_e32 v19, v13
	v_sub_nc_u32_e32 v16, v16, v18
	v_min_u32_e32 v18, 32, v19
	v_or_b32_e32 v15, v15, v16
	v_not_b32_e32 v16, v18
	v_mul_f32_e32 v19, 0x3fc90fda, v15
	v_add_lshl_u32 v17, v18, v17, 23
	v_alignbit_b32 v10, v13, v10, v16
	v_fma_f32 v13, 0x3fc90fda, v15, -v19
	v_sub_nc_u32_e32 v12, v12, v17
	v_lshrrev_b32_e32 v10, 9, v10
	v_fmamk_f32 v13, v15, 0x33a22168, v13
	v_or_b32_e32 v10, v12, v10
	v_fmac_f32_e32 v13, 0x3fc90fda, v10
	v_add_f32_e32 v10, v19, v13
.LBB13_76:
	s_andn2_saveexec_b32 s0, s8
; %bb.77:
	v_mul_f32_e64 v10, 0x3f22f983, |v9|
	v_rndne_f32_e32 v11, v10
	v_fma_f32 v10, 0xbfc90fda, v11, |v9|
	v_fmamk_f32 v10, v11, 0xb3a22168, v10
	v_fmamk_f32 v10, v11, 0xa7c234c4, v10
	v_cvt_i32_f32_e32 v11, v11
; %bb.78:
	s_or_b32 exec_lo, exec_lo, s0
	v_mul_f32_e32 v12, v10, v10
	s_mov_b32 s0, 0xb94c1982
	s_mov_b32 s1, 0x37d75334
	v_and_b32_e32 v15, 1, v11
	v_lshlrev_b32_e32 v11, 30, v11
	v_fmaak_f32 v13, s0, v12, 0x3c0881c4
	v_fmaak_f32 v14, s1, v12, 0xbab64f3b
	v_xor_b32_e32 v5, v5, v9
	v_cmp_eq_u32_e32 vcc_lo, 0, v15
	v_and_b32_e32 v11, 0x80000000, v11
	v_fmaak_f32 v13, v12, v13, 0xbe2aaa9d
	v_fmaak_f32 v14, v12, v14, 0x3d2aabf7
	v_mul_f32_e32 v13, v12, v13
	v_fmaak_f32 v14, v12, v14, 0xbf000004
	v_fmac_f32_e32 v10, v10, v13
	v_fma_f32 v12, v12, v14, 1.0
	v_cndmask_b32_e32 v10, v12, v10, vcc_lo
	v_cmp_class_f32_e64 vcc_lo, v9, 0x1f8
	v_xor3_b32 v5, v5, v11, v10
	v_cndmask_b32_e32 v5, 0x7fc00000, v5, vcc_lo
	v_div_scale_f32 v10, null, v9, v9, v5
	v_rcp_f32_e32 v11, v10
	v_fma_f32 v12, -v10, v11, 1.0
	v_fmac_f32_e32 v11, v12, v11
	v_div_scale_f32 v12, vcc_lo, v5, v9, v5
	v_mul_f32_e32 v13, v12, v11
	v_fma_f32 v14, -v10, v13, v12
	v_fmac_f32_e32 v13, v14, v11
	v_fma_f32 v10, -v10, v13, v12
	v_div_fmas_f32 v10, v10, v11, v13
	v_div_fixup_f32 v5, v10, v9, v5
                                        ; implicit-def: $vgpr9
.LBB13_79:
	s_andn2_saveexec_b32 s0, s3
	s_cbranch_execz .LBB13_81
; %bb.80:
	v_mul_f32_e32 v5, v9, v9
	s_mov_b32 s1, 0x2f309231
	v_fmaak_f32 v9, s1, v5, 0xb2d7322b
	v_fmaak_f32 v9, v5, v9, 0x3638ef1d
	;; [unrolled: 1-line block ×5, first 2 shown]
	v_fma_f32 v5, v5, v9, 1.0
.LBB13_81:
	s_or_b32 exec_lo, exec_lo, s0
.LBB13_82:
	s_or_b32 exec_lo, exec_lo, s2
	global_load_dword v6, v6, s[6:7]
	s_mov_b32 s2, exec_lo
	s_waitcnt vmcnt(0)
	v_cmpx_neq_f32_e64 0x7f800000, |v6|
	s_cbranch_execz .LBB13_92
; %bb.83:
                                        ; implicit-def: $vgpr4
	s_mov_b32 s1, exec_lo
	v_cmpx_nlt_f32_e64 |v6|, 0.5
	s_xor_b32 s3, exec_lo, s1
	s_cbranch_execz .LBB13_89
; %bb.84:
	v_and_b32_e32 v4, 0x7fffffff, v6
                                        ; implicit-def: $vgpr10
                                        ; implicit-def: $vgpr9
	s_mov_b32 s1, exec_lo
	v_cmpx_ngt_f32_e64 0x48000000, |v6|
	s_xor_b32 s8, exec_lo, s1
	s_cbranch_execz .LBB13_86
; %bb.85:
	s_mov_b32 s0, 0x7fffff
	v_mov_b32_e32 v11, 0
	v_and_or_b32 v18, v4, s0, 0x800000
	v_lshrrev_b32_e32 v16, 23, v4
	v_mad_u64_u32 v[9:10], null, 0xfe5163ab, v18, 0
	v_add_nc_u32_e32 v17, 0xffffff88, v16
	v_cmp_lt_u32_e32 vcc_lo, 63, v17
	v_mad_u64_u32 v[12:13], null, 0x3c439041, v18, v[10:11]
	v_cndmask_b32_e64 v19, 0, 0xffffffc0, vcc_lo
	v_mov_b32_e32 v10, v13
	v_add_nc_u32_e32 v19, v19, v17
	v_mad_u64_u32 v[13:14], null, 0xdb629599, v18, v[10:11]
	v_cmp_lt_u32_e64 s0, 31, v19
	v_cndmask_b32_e64 v20, 0, 0xffffffe0, s0
	v_mov_b32_e32 v10, v14
	v_cndmask_b32_e32 v9, v13, v9, vcc_lo
	v_mad_u64_u32 v[14:15], null, 0xf534ddc0, v18, v[10:11]
	v_mov_b32_e32 v10, v15
	v_cndmask_b32_e32 v12, v14, v12, vcc_lo
	v_mad_u64_u32 v[15:16], null, 0xfc2757d1, v18, v[10:11]
	v_cndmask_b32_e64 v9, v12, v9, s0
	v_mov_b32_e32 v10, v16
	v_mad_u64_u32 v[16:17], null, 0x4e441529, v18, v[10:11]
	v_mov_b32_e32 v10, v17
	v_add_nc_u32_e32 v17, v20, v19
	v_cndmask_b32_e32 v19, v16, v14, vcc_lo
	v_mad_u64_u32 v[10:11], null, 0xa2f9836e, v18, v[10:11]
	v_cmp_lt_u32_e64 s1, 31, v17
	v_cndmask_b32_e64 v18, 0, 0xffffffe0, s1
	v_cndmask_b32_e32 v10, v10, v15, vcc_lo
	v_cndmask_b32_e32 v11, v11, v16, vcc_lo
	;; [unrolled: 1-line block ×3, first 2 shown]
	v_add_nc_u32_e32 v16, v18, v17
	v_cndmask_b32_e64 v14, v10, v19, s0
	v_cndmask_b32_e64 v10, v11, v10, s0
	;; [unrolled: 1-line block ×4, first 2 shown]
	v_sub_nc_u32_e32 v17, 32, v16
	v_cmp_eq_u32_e32 vcc_lo, 0, v16
	v_cndmask_b32_e64 v10, v10, v14, s1
	v_cndmask_b32_e64 v14, v14, v11, s1
	;; [unrolled: 1-line block ×4, first 2 shown]
	v_alignbit_b32 v18, v10, v14, v17
	v_alignbit_b32 v13, v14, v11, v17
	;; [unrolled: 1-line block ×3, first 2 shown]
	v_cndmask_b32_e32 v10, v18, v10, vcc_lo
	v_cndmask_b32_e32 v12, v13, v14, vcc_lo
	;; [unrolled: 1-line block ×3, first 2 shown]
	v_bfe_u32 v13, v10, 29, 1
	v_alignbit_b32 v14, v10, v12, 30
	v_alignbit_b32 v12, v12, v11, 30
	;; [unrolled: 1-line block ×3, first 2 shown]
	v_sub_nc_u32_e32 v15, 0, v13
	v_xor_b32_e32 v14, v14, v15
	v_xor_b32_e32 v11, v12, v15
	;; [unrolled: 1-line block ×3, first 2 shown]
	v_lshrrev_b32_e32 v15, 29, v10
	v_lshrrev_b32_e32 v10, 30, v10
	v_ffbh_u32_e32 v16, v14
	v_add_nc_u32_e32 v10, v13, v10
	v_min_u32_e32 v16, 32, v16
	v_sub_nc_u32_e32 v12, 31, v16
	v_lshlrev_b32_e32 v17, 23, v16
	v_alignbit_b32 v14, v14, v11, v12
	v_alignbit_b32 v9, v11, v9, v12
	v_lshlrev_b32_e32 v11, 31, v15
	v_alignbit_b32 v12, v14, v9, 9
	v_or_b32_e32 v15, 0.5, v11
	v_lshrrev_b32_e32 v14, 9, v14
	v_or_b32_e32 v11, 0x33000000, v11
	v_ffbh_u32_e32 v18, v12
	v_sub_nc_u32_e32 v15, v15, v17
	v_min_u32_e32 v17, 32, v18
	v_or_b32_e32 v14, v14, v15
	v_not_b32_e32 v15, v17
	v_mul_f32_e32 v18, 0x3fc90fda, v14
	v_add_lshl_u32 v16, v17, v16, 23
	v_alignbit_b32 v9, v12, v9, v15
	v_fma_f32 v12, 0x3fc90fda, v14, -v18
	v_sub_nc_u32_e32 v11, v11, v16
	v_lshrrev_b32_e32 v9, 9, v9
	v_fmamk_f32 v12, v14, 0x33a22168, v12
	v_or_b32_e32 v9, v11, v9
	v_fmac_f32_e32 v12, 0x3fc90fda, v9
	v_add_f32_e32 v9, v18, v12
.LBB13_86:
	s_andn2_saveexec_b32 s0, s8
; %bb.87:
	v_mul_f32_e64 v9, 0x3f22f983, |v6|
	v_rndne_f32_e32 v10, v9
	v_fma_f32 v9, 0xbfc90fda, v10, |v6|
	v_fmamk_f32 v9, v10, 0xb3a22168, v9
	v_fmamk_f32 v9, v10, 0xa7c234c4, v9
	v_cvt_i32_f32_e32 v10, v10
; %bb.88:
	s_or_b32 exec_lo, exec_lo, s0
	v_mul_f32_e32 v11, v9, v9
	s_mov_b32 s0, 0xb94c1982
	s_mov_b32 s1, 0x37d75334
	v_and_b32_e32 v14, 1, v10
	v_lshlrev_b32_e32 v10, 30, v10
	v_fmaak_f32 v12, s0, v11, 0x3c0881c4
	v_fmaak_f32 v13, s1, v11, 0xbab64f3b
	v_xor_b32_e32 v4, v4, v6
	v_cmp_eq_u32_e32 vcc_lo, 0, v14
	v_and_b32_e32 v10, 0x80000000, v10
	v_fmaak_f32 v12, v11, v12, 0xbe2aaa9d
	v_fmaak_f32 v13, v11, v13, 0x3d2aabf7
	v_mul_f32_e32 v12, v11, v12
	v_fmaak_f32 v13, v11, v13, 0xbf000004
	v_fmac_f32_e32 v9, v9, v12
	v_fma_f32 v11, v11, v13, 1.0
	v_cndmask_b32_e32 v9, v11, v9, vcc_lo
	v_cmp_class_f32_e64 vcc_lo, v6, 0x1f8
	v_xor3_b32 v4, v4, v10, v9
	v_cndmask_b32_e32 v4, 0x7fc00000, v4, vcc_lo
	v_div_scale_f32 v9, null, v6, v6, v4
	v_rcp_f32_e32 v10, v9
	v_fma_f32 v11, -v9, v10, 1.0
	v_fmac_f32_e32 v10, v11, v10
	v_div_scale_f32 v11, vcc_lo, v4, v6, v4
	v_mul_f32_e32 v12, v11, v10
	v_fma_f32 v13, -v9, v12, v11
	v_fmac_f32_e32 v12, v13, v10
	v_fma_f32 v9, -v9, v12, v11
	v_div_fmas_f32 v9, v9, v10, v12
	v_div_fixup_f32 v4, v9, v6, v4
                                        ; implicit-def: $vgpr6
.LBB13_89:
	s_andn2_saveexec_b32 s0, s3
	s_cbranch_execz .LBB13_91
; %bb.90:
	v_mul_f32_e32 v4, v6, v6
	s_mov_b32 s1, 0x2f309231
	v_fmaak_f32 v6, s1, v4, 0xb2d7322b
	v_fmaak_f32 v6, v4, v6, 0x3638ef1d
	;; [unrolled: 1-line block ×5, first 2 shown]
	v_fma_f32 v4, v4, v6, 1.0
.LBB13_91:
	s_or_b32 exec_lo, exec_lo, s0
.LBB13_92:
	s_or_b32 exec_lo, exec_lo, s2
	global_load_dword v9, v7, s[6:7]
	v_mov_b32_e32 v6, 0
	v_mov_b32_e32 v7, 0
	s_mov_b32 s2, exec_lo
	s_waitcnt vmcnt(0)
	v_cmpx_neq_f32_e64 0x7f800000, |v9|
	s_cbranch_execz .LBB13_102
; %bb.93:
                                        ; implicit-def: $vgpr7
	s_mov_b32 s1, exec_lo
	v_cmpx_nlt_f32_e64 |v9|, 0.5
	s_xor_b32 s3, exec_lo, s1
	s_cbranch_execz .LBB13_99
; %bb.94:
	v_and_b32_e32 v7, 0x7fffffff, v9
                                        ; implicit-def: $vgpr11
                                        ; implicit-def: $vgpr10
	s_mov_b32 s1, exec_lo
	v_cmpx_ngt_f32_e64 0x48000000, |v9|
	s_xor_b32 s8, exec_lo, s1
	s_cbranch_execz .LBB13_96
; %bb.95:
	s_mov_b32 s0, 0x7fffff
	v_mov_b32_e32 v12, 0
	v_and_or_b32 v19, v7, s0, 0x800000
	v_lshrrev_b32_e32 v17, 23, v7
	v_mad_u64_u32 v[10:11], null, 0xfe5163ab, v19, 0
	v_add_nc_u32_e32 v18, 0xffffff88, v17
	v_cmp_lt_u32_e32 vcc_lo, 63, v18
	v_mad_u64_u32 v[13:14], null, 0x3c439041, v19, v[11:12]
	v_cndmask_b32_e64 v20, 0, 0xffffffc0, vcc_lo
	v_mov_b32_e32 v11, v14
	v_add_nc_u32_e32 v20, v20, v18
	v_mad_u64_u32 v[14:15], null, 0xdb629599, v19, v[11:12]
	v_cmp_lt_u32_e64 s0, 31, v20
	v_cndmask_b32_e64 v21, 0, 0xffffffe0, s0
	v_mov_b32_e32 v11, v15
	v_cndmask_b32_e32 v10, v14, v10, vcc_lo
	v_mad_u64_u32 v[15:16], null, 0xf534ddc0, v19, v[11:12]
	v_mov_b32_e32 v11, v16
	v_cndmask_b32_e32 v13, v15, v13, vcc_lo
	v_mad_u64_u32 v[16:17], null, 0xfc2757d1, v19, v[11:12]
	v_cndmask_b32_e64 v10, v13, v10, s0
	v_mov_b32_e32 v11, v17
	v_mad_u64_u32 v[17:18], null, 0x4e441529, v19, v[11:12]
	v_mov_b32_e32 v11, v18
	v_add_nc_u32_e32 v18, v21, v20
	v_cndmask_b32_e32 v20, v17, v15, vcc_lo
	v_mad_u64_u32 v[11:12], null, 0xa2f9836e, v19, v[11:12]
	v_cmp_lt_u32_e64 s1, 31, v18
	v_cndmask_b32_e64 v19, 0, 0xffffffe0, s1
	v_cndmask_b32_e32 v11, v11, v16, vcc_lo
	v_cndmask_b32_e32 v12, v12, v17, vcc_lo
	;; [unrolled: 1-line block ×3, first 2 shown]
	v_add_nc_u32_e32 v17, v19, v18
	v_cndmask_b32_e64 v15, v11, v20, s0
	v_cndmask_b32_e64 v11, v12, v11, s0
	;; [unrolled: 1-line block ×4, first 2 shown]
	v_sub_nc_u32_e32 v18, 32, v17
	v_cmp_eq_u32_e32 vcc_lo, 0, v17
	v_cndmask_b32_e64 v11, v11, v15, s1
	v_cndmask_b32_e64 v15, v15, v12, s1
	;; [unrolled: 1-line block ×4, first 2 shown]
	v_alignbit_b32 v19, v11, v15, v18
	v_alignbit_b32 v14, v15, v12, v18
	;; [unrolled: 1-line block ×3, first 2 shown]
	v_cndmask_b32_e32 v11, v19, v11, vcc_lo
	v_cndmask_b32_e32 v13, v14, v15, vcc_lo
	;; [unrolled: 1-line block ×3, first 2 shown]
	v_bfe_u32 v14, v11, 29, 1
	v_alignbit_b32 v15, v11, v13, 30
	v_alignbit_b32 v13, v13, v12, 30
	;; [unrolled: 1-line block ×3, first 2 shown]
	v_sub_nc_u32_e32 v16, 0, v14
	v_xor_b32_e32 v15, v15, v16
	v_xor_b32_e32 v12, v13, v16
	;; [unrolled: 1-line block ×3, first 2 shown]
	v_lshrrev_b32_e32 v16, 29, v11
	v_lshrrev_b32_e32 v11, 30, v11
	v_ffbh_u32_e32 v17, v15
	v_add_nc_u32_e32 v11, v14, v11
	v_min_u32_e32 v17, 32, v17
	v_sub_nc_u32_e32 v13, 31, v17
	v_lshlrev_b32_e32 v18, 23, v17
	v_alignbit_b32 v15, v15, v12, v13
	v_alignbit_b32 v10, v12, v10, v13
	v_lshlrev_b32_e32 v12, 31, v16
	v_alignbit_b32 v13, v15, v10, 9
	v_or_b32_e32 v16, 0.5, v12
	v_lshrrev_b32_e32 v15, 9, v15
	v_or_b32_e32 v12, 0x33000000, v12
	v_ffbh_u32_e32 v19, v13
	v_sub_nc_u32_e32 v16, v16, v18
	v_min_u32_e32 v18, 32, v19
	v_or_b32_e32 v15, v15, v16
	v_not_b32_e32 v16, v18
	v_mul_f32_e32 v19, 0x3fc90fda, v15
	v_add_lshl_u32 v17, v18, v17, 23
	v_alignbit_b32 v10, v13, v10, v16
	v_fma_f32 v13, 0x3fc90fda, v15, -v19
	v_sub_nc_u32_e32 v12, v12, v17
	v_lshrrev_b32_e32 v10, 9, v10
	v_fmamk_f32 v13, v15, 0x33a22168, v13
	v_or_b32_e32 v10, v12, v10
	v_fmac_f32_e32 v13, 0x3fc90fda, v10
	v_add_f32_e32 v10, v19, v13
.LBB13_96:
	s_andn2_saveexec_b32 s0, s8
; %bb.97:
	v_mul_f32_e64 v10, 0x3f22f983, |v9|
	v_rndne_f32_e32 v11, v10
	v_fma_f32 v10, 0xbfc90fda, v11, |v9|
	v_fmamk_f32 v10, v11, 0xb3a22168, v10
	v_fmamk_f32 v10, v11, 0xa7c234c4, v10
	v_cvt_i32_f32_e32 v11, v11
; %bb.98:
	s_or_b32 exec_lo, exec_lo, s0
	v_mul_f32_e32 v12, v10, v10
	s_mov_b32 s0, 0xb94c1982
	s_mov_b32 s1, 0x37d75334
	v_and_b32_e32 v15, 1, v11
	v_lshlrev_b32_e32 v11, 30, v11
	v_fmaak_f32 v13, s0, v12, 0x3c0881c4
	v_fmaak_f32 v14, s1, v12, 0xbab64f3b
	v_xor_b32_e32 v7, v7, v9
	v_cmp_eq_u32_e32 vcc_lo, 0, v15
	v_and_b32_e32 v11, 0x80000000, v11
	v_fmaak_f32 v13, v12, v13, 0xbe2aaa9d
	v_fmaak_f32 v14, v12, v14, 0x3d2aabf7
	v_mul_f32_e32 v13, v12, v13
	v_fmaak_f32 v14, v12, v14, 0xbf000004
	v_fmac_f32_e32 v10, v10, v13
	v_fma_f32 v12, v12, v14, 1.0
	v_cndmask_b32_e32 v10, v12, v10, vcc_lo
	v_cmp_class_f32_e64 vcc_lo, v9, 0x1f8
	v_xor3_b32 v7, v7, v11, v10
	v_cndmask_b32_e32 v7, 0x7fc00000, v7, vcc_lo
	v_div_scale_f32 v10, null, v9, v9, v7
	v_rcp_f32_e32 v11, v10
	v_fma_f32 v12, -v10, v11, 1.0
	v_fmac_f32_e32 v11, v12, v11
	v_div_scale_f32 v12, vcc_lo, v7, v9, v7
	v_mul_f32_e32 v13, v12, v11
	v_fma_f32 v14, -v10, v13, v12
	v_fmac_f32_e32 v13, v14, v11
	v_fma_f32 v10, -v10, v13, v12
	v_div_fmas_f32 v10, v10, v11, v13
	v_div_fixup_f32 v7, v10, v9, v7
                                        ; implicit-def: $vgpr9
.LBB13_99:
	s_andn2_saveexec_b32 s0, s3
	s_cbranch_execz .LBB13_101
; %bb.100:
	v_mul_f32_e32 v7, v9, v9
	s_mov_b32 s1, 0x2f309231
	v_fmaak_f32 v9, s1, v7, 0xb2d7322b
	v_fmaak_f32 v9, v7, v9, 0x3638ef1d
	;; [unrolled: 1-line block ×5, first 2 shown]
	v_fma_f32 v7, v7, v9, 1.0
.LBB13_101:
	s_or_b32 exec_lo, exec_lo, s0
.LBB13_102:
	s_or_b32 exec_lo, exec_lo, s2
	global_load_dword v8, v8, s[6:7]
	s_mov_b32 s2, exec_lo
	s_waitcnt vmcnt(0)
	v_cmpx_neq_f32_e64 0x7f800000, |v8|
	s_cbranch_execz .LBB13_112
; %bb.103:
                                        ; implicit-def: $vgpr6
	s_mov_b32 s1, exec_lo
	v_cmpx_nlt_f32_e64 |v8|, 0.5
	s_xor_b32 s3, exec_lo, s1
	s_cbranch_execz .LBB13_109
; %bb.104:
	v_and_b32_e32 v6, 0x7fffffff, v8
                                        ; implicit-def: $vgpr10
                                        ; implicit-def: $vgpr9
	s_mov_b32 s1, exec_lo
	v_cmpx_ngt_f32_e64 0x48000000, |v8|
	s_xor_b32 s6, exec_lo, s1
	s_cbranch_execz .LBB13_106
; %bb.105:
	s_mov_b32 s0, 0x7fffff
	v_mov_b32_e32 v11, 0
	v_and_or_b32 v18, v6, s0, 0x800000
	v_lshrrev_b32_e32 v16, 23, v6
	v_mad_u64_u32 v[9:10], null, 0xfe5163ab, v18, 0
	v_add_nc_u32_e32 v17, 0xffffff88, v16
	v_cmp_lt_u32_e32 vcc_lo, 63, v17
	v_mad_u64_u32 v[12:13], null, 0x3c439041, v18, v[10:11]
	v_cndmask_b32_e64 v19, 0, 0xffffffc0, vcc_lo
	v_mov_b32_e32 v10, v13
	v_add_nc_u32_e32 v19, v19, v17
	v_mad_u64_u32 v[13:14], null, 0xdb629599, v18, v[10:11]
	v_cmp_lt_u32_e64 s0, 31, v19
	v_cndmask_b32_e64 v20, 0, 0xffffffe0, s0
	v_mov_b32_e32 v10, v14
	v_cndmask_b32_e32 v9, v13, v9, vcc_lo
	v_mad_u64_u32 v[14:15], null, 0xf534ddc0, v18, v[10:11]
	v_mov_b32_e32 v10, v15
	v_cndmask_b32_e32 v12, v14, v12, vcc_lo
	v_mad_u64_u32 v[15:16], null, 0xfc2757d1, v18, v[10:11]
	v_cndmask_b32_e64 v9, v12, v9, s0
	v_mov_b32_e32 v10, v16
	v_mad_u64_u32 v[16:17], null, 0x4e441529, v18, v[10:11]
	v_mov_b32_e32 v10, v17
	v_add_nc_u32_e32 v17, v20, v19
	v_cndmask_b32_e32 v19, v16, v14, vcc_lo
	v_mad_u64_u32 v[10:11], null, 0xa2f9836e, v18, v[10:11]
	v_cmp_lt_u32_e64 s1, 31, v17
	v_cndmask_b32_e64 v18, 0, 0xffffffe0, s1
	v_cndmask_b32_e32 v10, v10, v15, vcc_lo
	v_cndmask_b32_e32 v11, v11, v16, vcc_lo
	v_cndmask_b32_e32 v15, v15, v13, vcc_lo
	v_add_nc_u32_e32 v16, v18, v17
	v_cndmask_b32_e64 v14, v10, v19, s0
	v_cndmask_b32_e64 v10, v11, v10, s0
	;; [unrolled: 1-line block ×4, first 2 shown]
	v_sub_nc_u32_e32 v17, 32, v16
	v_cmp_eq_u32_e32 vcc_lo, 0, v16
	v_cndmask_b32_e64 v10, v10, v14, s1
	v_cndmask_b32_e64 v14, v14, v11, s1
	;; [unrolled: 1-line block ×4, first 2 shown]
	v_alignbit_b32 v18, v10, v14, v17
	v_alignbit_b32 v13, v14, v11, v17
	;; [unrolled: 1-line block ×3, first 2 shown]
	v_cndmask_b32_e32 v10, v18, v10, vcc_lo
	v_cndmask_b32_e32 v12, v13, v14, vcc_lo
	;; [unrolled: 1-line block ×3, first 2 shown]
	v_bfe_u32 v13, v10, 29, 1
	v_alignbit_b32 v14, v10, v12, 30
	v_alignbit_b32 v12, v12, v11, 30
	;; [unrolled: 1-line block ×3, first 2 shown]
	v_sub_nc_u32_e32 v15, 0, v13
	v_xor_b32_e32 v14, v14, v15
	v_xor_b32_e32 v11, v12, v15
	;; [unrolled: 1-line block ×3, first 2 shown]
	v_lshrrev_b32_e32 v15, 29, v10
	v_lshrrev_b32_e32 v10, 30, v10
	v_ffbh_u32_e32 v16, v14
	v_add_nc_u32_e32 v10, v13, v10
	v_min_u32_e32 v16, 32, v16
	v_sub_nc_u32_e32 v12, 31, v16
	v_lshlrev_b32_e32 v17, 23, v16
	v_alignbit_b32 v14, v14, v11, v12
	v_alignbit_b32 v9, v11, v9, v12
	v_lshlrev_b32_e32 v11, 31, v15
	v_alignbit_b32 v12, v14, v9, 9
	v_or_b32_e32 v15, 0.5, v11
	v_lshrrev_b32_e32 v14, 9, v14
	v_or_b32_e32 v11, 0x33000000, v11
	v_ffbh_u32_e32 v18, v12
	v_sub_nc_u32_e32 v15, v15, v17
	v_min_u32_e32 v17, 32, v18
	v_or_b32_e32 v14, v14, v15
	v_not_b32_e32 v15, v17
	v_mul_f32_e32 v18, 0x3fc90fda, v14
	v_add_lshl_u32 v16, v17, v16, 23
	v_alignbit_b32 v9, v12, v9, v15
	v_fma_f32 v12, 0x3fc90fda, v14, -v18
	v_sub_nc_u32_e32 v11, v11, v16
	v_lshrrev_b32_e32 v9, 9, v9
	v_fmamk_f32 v12, v14, 0x33a22168, v12
	v_or_b32_e32 v9, v11, v9
	v_fmac_f32_e32 v12, 0x3fc90fda, v9
	v_add_f32_e32 v9, v18, v12
.LBB13_106:
	s_andn2_saveexec_b32 s0, s6
; %bb.107:
	v_mul_f32_e64 v9, 0x3f22f983, |v8|
	v_rndne_f32_e32 v10, v9
	v_fma_f32 v9, 0xbfc90fda, v10, |v8|
	v_fmamk_f32 v9, v10, 0xb3a22168, v9
	v_fmamk_f32 v9, v10, 0xa7c234c4, v9
	v_cvt_i32_f32_e32 v10, v10
; %bb.108:
	s_or_b32 exec_lo, exec_lo, s0
	v_mul_f32_e32 v11, v9, v9
	s_mov_b32 s0, 0xb94c1982
	s_mov_b32 s1, 0x37d75334
	v_and_b32_e32 v14, 1, v10
	v_lshlrev_b32_e32 v10, 30, v10
	v_fmaak_f32 v12, s0, v11, 0x3c0881c4
	v_fmaak_f32 v13, s1, v11, 0xbab64f3b
	v_xor_b32_e32 v6, v6, v8
	v_cmp_eq_u32_e32 vcc_lo, 0, v14
	v_and_b32_e32 v10, 0x80000000, v10
	v_fmaak_f32 v12, v11, v12, 0xbe2aaa9d
	v_fmaak_f32 v13, v11, v13, 0x3d2aabf7
	v_mul_f32_e32 v12, v11, v12
	v_fmaak_f32 v13, v11, v13, 0xbf000004
	v_fmac_f32_e32 v9, v9, v12
	v_fma_f32 v11, v11, v13, 1.0
	v_cndmask_b32_e32 v9, v11, v9, vcc_lo
	v_cmp_class_f32_e64 vcc_lo, v8, 0x1f8
	v_xor3_b32 v6, v6, v10, v9
	v_cndmask_b32_e32 v6, 0x7fc00000, v6, vcc_lo
	v_div_scale_f32 v9, null, v8, v8, v6
	v_rcp_f32_e32 v10, v9
	v_fma_f32 v11, -v9, v10, 1.0
	v_fmac_f32_e32 v10, v11, v10
	v_div_scale_f32 v11, vcc_lo, v6, v8, v6
	v_mul_f32_e32 v12, v11, v10
	v_fma_f32 v13, -v9, v12, v11
	v_fmac_f32_e32 v12, v13, v10
	v_fma_f32 v9, -v9, v12, v11
	v_div_fmas_f32 v9, v9, v10, v12
	v_div_fixup_f32 v6, v9, v8, v6
                                        ; implicit-def: $vgpr8
.LBB13_109:
	s_andn2_saveexec_b32 s0, s3
	s_cbranch_execz .LBB13_111
; %bb.110:
	v_mul_f32_e32 v6, v8, v8
	s_mov_b32 s1, 0x2f309231
	v_fmaak_f32 v8, s1, v6, 0xb2d7322b
	v_fmaak_f32 v8, v6, v8, 0x3638ef1d
	;; [unrolled: 1-line block ×5, first 2 shown]
	v_fma_f32 v6, v6, v8, 1.0
.LBB13_111:
	s_or_b32 exec_lo, exec_lo, s0
.LBB13_112:
	s_or_b32 exec_lo, exec_lo, s2
	global_store_dword v0, v5, s[4:5]
	global_store_dword v1, v4, s[4:5]
	;; [unrolled: 1-line block ×4, first 2 shown]
	s_endpgm
.LBB13_113:
	v_mov_b32_e32 v0, 0
	v_mov_b32_e32 v2, 0
	s_branch .LBB13_119
.LBB13_114:
	v_mov_b32_e32 v0, 0
	v_mov_b32_e32 v2, 0
	s_branch .LBB13_145
.LBB13_115:
	v_mov_b32_e32 v0, 0
	v_mov_b32_e32 v2, 0
	;; [unrolled: 1-line block ×3, first 2 shown]
	s_mov_b32 s31, 0
.LBB13_116:
	s_and_b32 s33, s33, 3
	s_cmp_eq_u32 s33, 0
	s_cbranch_scc1 .LBB13_119
; %bb.117:
	s_lshl_b32 s0, s31, 3
	s_mul_i32 s20, s31, 12
	s_add_u32 s0, s2, s0
	s_addc_u32 s1, s3, 0
	s_add_u32 s0, s0, 0xc4
	s_addc_u32 s1, s1, 0
	s_add_u32 s20, s2, s20
	s_addc_u32 s21, s3, 0
	.p2align	6
.LBB13_118:                             ; =>This Inner Loop Header: Depth=1
	s_clause 0x1
	s_load_dwordx2 s[34:35], s[20:21], 0x4
	s_load_dword s31, s[20:21], 0xc
	s_load_dwordx2 s[36:37], s[0:1], 0x0
	s_add_u32 s20, s20, 12
	s_addc_u32 s21, s21, 0
	s_add_u32 s0, s0, 8
	s_addc_u32 s1, s1, 0
	s_add_i32 s33, s33, -1
	s_cmp_lg_u32 s33, 0
	s_waitcnt lgkmcnt(0)
	v_mul_hi_u32 v3, s35, v1
	v_add_nc_u32_e32 v3, v1, v3
	v_lshrrev_b32_e32 v5, s31, v3
	v_mul_lo_u32 v3, v5, s34
	v_sub_nc_u32_e32 v3, v1, v3
	v_mad_u64_u32 v[0:1], null, v3, s36, v[0:1]
	v_mad_u64_u32 v[2:3], null, v3, s37, v[2:3]
	v_mov_b32_e32 v1, v5
	s_cbranch_scc1 .LBB13_118
.LBB13_119:
	s_cbranch_execnz .LBB13_122
.LBB13_120:
	s_waitcnt lgkmcnt(0)
	v_mul_hi_u32 v0, s13, v4
	s_andn2_b32 vcc_lo, exec_lo, s26
	v_add_nc_u32_e32 v0, v4, v0
	v_lshrrev_b32_e32 v1, s14, v0
	v_mul_lo_u32 v0, v1, s12
	v_sub_nc_u32_e32 v2, v4, v0
	v_mul_lo_u32 v0, v2, s8
	v_mul_lo_u32 v2, v2, s9
	s_cbranch_vccnz .LBB13_122
; %bb.121:
	v_mul_hi_u32 v3, s16, v1
	v_add_nc_u32_e32 v3, v1, v3
	v_lshrrev_b32_e32 v3, s17, v3
	v_mul_lo_u32 v3, v3, s15
	v_sub_nc_u32_e32 v3, v1, v3
	v_mad_u64_u32 v[0:1], null, v3, s10, v[0:1]
	v_mad_u64_u32 v[2:3], null, v3, s11, v[2:3]
.LBB13_122:
	s_waitcnt lgkmcnt(0)
	global_load_dword v1, v2, s[6:7]
	v_mov_b32_e32 v2, 0
	s_mov_b32 s20, exec_lo
	s_waitcnt vmcnt(0)
	v_cmpx_neq_f32_e64 0x7f800000, |v1|
	s_cbranch_execz .LBB13_132
; %bb.123:
                                        ; implicit-def: $vgpr2
	s_mov_b32 s1, exec_lo
	v_cmpx_nlt_f32_e64 |v1|, 0.5
	s_xor_b32 s21, exec_lo, s1
	s_cbranch_execz .LBB13_129
; %bb.124:
	v_and_b32_e32 v2, 0x7fffffff, v1
                                        ; implicit-def: $vgpr5
                                        ; implicit-def: $vgpr3
	s_mov_b32 s1, exec_lo
	v_cmpx_ngt_f32_e64 0x48000000, |v1|
	s_xor_b32 s31, exec_lo, s1
	s_cbranch_execz .LBB13_126
; %bb.125:
	s_mov_b32 s0, 0x7fffff
	v_mov_b32_e32 v7, 0
	v_and_or_b32 v3, v2, s0, 0x800000
	v_lshrrev_b32_e32 v12, 23, v2
	v_mad_u64_u32 v[5:6], null, 0xfe5163ab, v3, 0
	v_add_nc_u32_e32 v13, 0xffffff88, v12
	v_cmp_lt_u32_e32 vcc_lo, 63, v13
	v_mad_u64_u32 v[8:9], null, 0x3c439041, v3, v[6:7]
	v_cndmask_b32_e64 v14, 0, 0xffffffc0, vcc_lo
	v_mov_b32_e32 v6, v9
	v_add_nc_u32_e32 v14, v14, v13
	v_mad_u64_u32 v[9:10], null, 0xdb629599, v3, v[6:7]
	v_cmp_lt_u32_e64 s0, 31, v14
	v_cndmask_b32_e64 v15, 0, 0xffffffe0, s0
	v_mov_b32_e32 v6, v10
	v_cndmask_b32_e32 v5, v9, v5, vcc_lo
	v_mad_u64_u32 v[10:11], null, 0xf534ddc0, v3, v[6:7]
	v_mov_b32_e32 v6, v11
	v_cndmask_b32_e32 v8, v10, v8, vcc_lo
	v_mad_u64_u32 v[11:12], null, 0xfc2757d1, v3, v[6:7]
	v_cndmask_b32_e64 v5, v8, v5, s0
	v_mov_b32_e32 v6, v12
	v_mad_u64_u32 v[12:13], null, 0x4e441529, v3, v[6:7]
	v_mov_b32_e32 v6, v13
	v_add_nc_u32_e32 v13, v15, v14
	v_cndmask_b32_e32 v14, v12, v10, vcc_lo
	v_mad_u64_u32 v[6:7], null, 0xa2f9836e, v3, v[6:7]
	v_cmp_lt_u32_e64 s1, 31, v13
	v_cndmask_b32_e64 v3, 0, 0xffffffe0, s1
	v_cndmask_b32_e32 v6, v6, v11, vcc_lo
	v_cndmask_b32_e32 v7, v7, v12, vcc_lo
	;; [unrolled: 1-line block ×3, first 2 shown]
	v_add_nc_u32_e32 v3, v3, v13
	v_cndmask_b32_e64 v10, v6, v14, s0
	v_cndmask_b32_e64 v6, v7, v6, s0
	;; [unrolled: 1-line block ×4, first 2 shown]
	v_sub_nc_u32_e32 v12, 32, v3
	v_cmp_eq_u32_e32 vcc_lo, 0, v3
	v_cndmask_b32_e64 v6, v6, v10, s1
	v_cndmask_b32_e64 v10, v10, v7, s1
	;; [unrolled: 1-line block ×4, first 2 shown]
	v_alignbit_b32 v13, v6, v10, v12
	v_alignbit_b32 v9, v10, v7, v12
	;; [unrolled: 1-line block ×3, first 2 shown]
	v_cndmask_b32_e32 v3, v13, v6, vcc_lo
	v_cndmask_b32_e32 v6, v9, v10, vcc_lo
	;; [unrolled: 1-line block ×3, first 2 shown]
	v_bfe_u32 v8, v3, 29, 1
	v_alignbit_b32 v9, v3, v6, 30
	v_alignbit_b32 v6, v6, v7, 30
	;; [unrolled: 1-line block ×3, first 2 shown]
	v_sub_nc_u32_e32 v10, 0, v8
	v_xor_b32_e32 v9, v9, v10
	v_xor_b32_e32 v6, v6, v10
	;; [unrolled: 1-line block ×3, first 2 shown]
	v_lshrrev_b32_e32 v10, 29, v3
	v_ffbh_u32_e32 v11, v9
	v_min_u32_e32 v11, 32, v11
	v_sub_nc_u32_e32 v7, 31, v11
	v_lshlrev_b32_e32 v12, 23, v11
	v_alignbit_b32 v9, v9, v6, v7
	v_alignbit_b32 v5, v6, v5, v7
	v_lshlrev_b32_e32 v6, 31, v10
	v_alignbit_b32 v7, v9, v5, 9
	v_or_b32_e32 v10, 0.5, v6
	v_lshrrev_b32_e32 v9, 9, v9
	v_or_b32_e32 v6, 0x33000000, v6
	v_ffbh_u32_e32 v13, v7
	v_sub_nc_u32_e32 v10, v10, v12
	v_min_u32_e32 v12, 32, v13
	v_or_b32_e32 v9, v9, v10
	v_not_b32_e32 v10, v12
	v_mul_f32_e32 v13, 0x3fc90fda, v9
	v_add_lshl_u32 v11, v12, v11, 23
	v_alignbit_b32 v5, v7, v5, v10
	v_fma_f32 v7, 0x3fc90fda, v9, -v13
	v_sub_nc_u32_e32 v6, v6, v11
	v_lshrrev_b32_e32 v5, 9, v5
	v_fmamk_f32 v7, v9, 0x33a22168, v7
	v_or_b32_e32 v5, v6, v5
	v_fmac_f32_e32 v7, 0x3fc90fda, v5
	v_lshrrev_b32_e32 v5, 30, v3
	v_add_f32_e32 v3, v13, v7
	v_add_nc_u32_e32 v5, v8, v5
.LBB13_126:
	s_andn2_saveexec_b32 s0, s31
; %bb.127:
	v_mul_f32_e64 v3, 0x3f22f983, |v1|
	v_rndne_f32_e32 v5, v3
	v_fma_f32 v3, 0xbfc90fda, v5, |v1|
	v_fmamk_f32 v3, v5, 0xb3a22168, v3
	v_fmamk_f32 v3, v5, 0xa7c234c4, v3
	v_cvt_i32_f32_e32 v5, v5
; %bb.128:
	s_or_b32 exec_lo, exec_lo, s0
	v_mul_f32_e32 v6, v3, v3
	s_mov_b32 s0, 0xb94c1982
	s_mov_b32 s1, 0x37d75334
	v_and_b32_e32 v9, 1, v5
	v_lshlrev_b32_e32 v5, 30, v5
	v_fmaak_f32 v7, s0, v6, 0x3c0881c4
	v_fmaak_f32 v8, s1, v6, 0xbab64f3b
	v_xor_b32_e32 v2, v2, v1
	v_cmp_eq_u32_e32 vcc_lo, 0, v9
	v_and_b32_e32 v5, 0x80000000, v5
	v_fmaak_f32 v7, v6, v7, 0xbe2aaa9d
	v_fmaak_f32 v8, v6, v8, 0x3d2aabf7
	v_mul_f32_e32 v7, v6, v7
	v_fmaak_f32 v8, v6, v8, 0xbf000004
	v_fmac_f32_e32 v3, v3, v7
	v_fma_f32 v6, v6, v8, 1.0
	v_cndmask_b32_e32 v3, v6, v3, vcc_lo
	v_cmp_class_f32_e64 vcc_lo, v1, 0x1f8
	v_xor3_b32 v2, v2, v5, v3
	v_cndmask_b32_e32 v2, 0x7fc00000, v2, vcc_lo
	v_div_scale_f32 v3, null, v1, v1, v2
	v_rcp_f32_e32 v5, v3
	v_fma_f32 v6, -v3, v5, 1.0
	v_fmac_f32_e32 v5, v6, v5
	v_div_scale_f32 v6, vcc_lo, v2, v1, v2
	v_mul_f32_e32 v7, v6, v5
	v_fma_f32 v8, -v3, v7, v6
	v_fmac_f32_e32 v7, v8, v5
	v_fma_f32 v3, -v3, v7, v6
	v_div_fmas_f32 v3, v3, v5, v7
	v_div_fixup_f32 v2, v3, v1, v2
                                        ; implicit-def: $vgpr1
.LBB13_129:
	s_andn2_saveexec_b32 s0, s21
	s_cbranch_execz .LBB13_131
; %bb.130:
	v_mul_f32_e32 v1, v1, v1
	s_mov_b32 s1, 0x2f309231
	v_fmaak_f32 v2, s1, v1, 0xb2d7322b
	v_fmaak_f32 v2, v1, v2, 0x3638ef1d
	;; [unrolled: 1-line block ×5, first 2 shown]
	v_fma_f32 v2, v1, v2, 1.0
.LBB13_131:
	s_or_b32 exec_lo, exec_lo, s0
.LBB13_132:
	s_or_b32 exec_lo, exec_lo, s20
	v_add_nc_u32_e32 v4, 0x80, v4
	global_store_dword v0, v2, s[4:5]
	s_or_b32 exec_lo, exec_lo, s30
	s_mov_b32 s30, exec_lo
	v_cmpx_gt_i32_e64 s27, v4
	s_cbranch_execnz .LBB13_15
.LBB13_133:
	s_or_b32 exec_lo, exec_lo, s30
	s_mov_b32 s30, exec_lo
	v_cmpx_gt_i32_e64 s27, v4
	s_cbranch_execz .LBB13_159
.LBB13_134:
	s_andn2_b32 vcc_lo, exec_lo, s24
	s_cbranch_vccnz .LBB13_139
; %bb.135:
	s_andn2_b32 vcc_lo, exec_lo, s29
	s_cbranch_vccnz .LBB13_140
; %bb.136:
	s_add_i32 s33, s28, 1
	s_cmp_eq_u32 s23, 2
	s_cbranch_scc1 .LBB13_162
; %bb.137:
	v_mov_b32_e32 v2, 0
	v_mov_b32_e32 v0, 0
	;; [unrolled: 1-line block ×3, first 2 shown]
	s_and_b32 s31, s33, 28
	s_mov_b32 s34, 0
	s_mov_b64 s[0:1], s[2:3]
	s_mov_b64 s[20:21], s[18:19]
.LBB13_138:                             ; =>This Inner Loop Header: Depth=1
	s_clause 0x1
	s_load_dwordx8 s[36:43], s[0:1], 0x4
	s_load_dwordx4 s[52:55], s[0:1], 0x24
	s_load_dwordx8 s[44:51], s[20:21], 0x0
	s_add_u32 s0, s0, 48
	s_addc_u32 s1, s1, 0
	s_add_i32 s34, s34, 4
	s_add_u32 s20, s20, 32
	s_addc_u32 s21, s21, 0
	s_cmp_eq_u32 s31, s34
	s_waitcnt lgkmcnt(0)
	v_mul_hi_u32 v3, s37, v1
	v_add_nc_u32_e32 v3, v1, v3
	v_lshrrev_b32_e32 v3, s38, v3
	v_mul_hi_u32 v5, s40, v3
	v_mul_lo_u32 v7, v3, s36
	v_add_nc_u32_e32 v5, v3, v5
	v_sub_nc_u32_e32 v1, v1, v7
	v_lshrrev_b32_e32 v5, s41, v5
	v_mul_lo_u32 v7, v1, s44
	v_mul_lo_u32 v9, v1, s45
	v_mul_hi_u32 v6, s43, v5
	v_add_nc_u32_e32 v6, v5, v6
	v_lshrrev_b32_e32 v6, s52, v6
	v_mul_hi_u32 v8, s54, v6
	v_mul_lo_u32 v10, v6, s42
	v_add_nc_u32_e32 v1, v6, v8
	v_mul_lo_u32 v8, v5, s39
	v_sub_nc_u32_e32 v5, v5, v10
	v_lshrrev_b32_e32 v1, s55, v1
	v_mul_lo_u32 v10, v5, s48
	v_mul_lo_u32 v5, v5, s49
	v_sub_nc_u32_e32 v3, v3, v8
	v_mul_lo_u32 v11, v1, s53
	v_mul_lo_u32 v8, v3, s46
	v_mul_lo_u32 v3, v3, s47
	v_sub_nc_u32_e32 v6, v6, v11
	v_add3_u32 v0, v7, v0, v8
	v_mul_lo_u32 v11, v6, s50
	v_mul_lo_u32 v6, v6, s51
	v_add3_u32 v2, v9, v2, v3
	v_add3_u32 v0, v10, v0, v11
	;; [unrolled: 1-line block ×3, first 2 shown]
	s_cbranch_scc0 .LBB13_138
	s_branch .LBB13_163
.LBB13_139:
                                        ; implicit-def: $vgpr0
                                        ; implicit-def: $vgpr2
	s_branch .LBB13_167
.LBB13_140:
	v_mov_b32_e32 v0, 0
	v_mov_b32_e32 v2, 0
	s_branch .LBB13_166
.LBB13_141:
	v_mov_b32_e32 v0, 0
	v_mov_b32_e32 v2, 0
	;; [unrolled: 1-line block ×3, first 2 shown]
	s_mov_b32 s31, 0
.LBB13_142:
	s_and_b32 s33, s33, 3
	s_cmp_eq_u32 s33, 0
	s_cbranch_scc1 .LBB13_145
; %bb.143:
	s_lshl_b32 s0, s31, 3
	s_mul_i32 s20, s31, 12
	s_add_u32 s0, s2, s0
	s_addc_u32 s1, s3, 0
	s_add_u32 s0, s0, 0xc4
	s_addc_u32 s1, s1, 0
	;; [unrolled: 2-line block ×3, first 2 shown]
	.p2align	6
.LBB13_144:                             ; =>This Inner Loop Header: Depth=1
	s_clause 0x1
	s_load_dwordx2 s[34:35], s[20:21], 0x4
	s_load_dword s31, s[20:21], 0xc
	s_load_dwordx2 s[36:37], s[0:1], 0x0
	s_add_u32 s20, s20, 12
	s_addc_u32 s21, s21, 0
	s_add_u32 s0, s0, 8
	s_addc_u32 s1, s1, 0
	s_add_i32 s33, s33, -1
	s_cmp_lg_u32 s33, 0
	s_waitcnt lgkmcnt(0)
	v_mul_hi_u32 v3, s35, v1
	v_add_nc_u32_e32 v3, v1, v3
	v_lshrrev_b32_e32 v5, s31, v3
	v_mul_lo_u32 v3, v5, s34
	v_sub_nc_u32_e32 v3, v1, v3
	v_mad_u64_u32 v[0:1], null, v3, s36, v[0:1]
	v_mad_u64_u32 v[2:3], null, v3, s37, v[2:3]
	v_mov_b32_e32 v1, v5
	s_cbranch_scc1 .LBB13_144
.LBB13_145:
	s_cbranch_execnz .LBB13_148
.LBB13_146:
	s_waitcnt lgkmcnt(0)
	v_mul_hi_u32 v0, s13, v4
	s_andn2_b32 vcc_lo, exec_lo, s26
	v_add_nc_u32_e32 v0, v4, v0
	v_lshrrev_b32_e32 v1, s14, v0
	v_mul_lo_u32 v0, v1, s12
	v_sub_nc_u32_e32 v2, v4, v0
	v_mul_lo_u32 v0, v2, s8
	v_mul_lo_u32 v2, v2, s9
	s_cbranch_vccnz .LBB13_148
; %bb.147:
	v_mul_hi_u32 v3, s16, v1
	v_add_nc_u32_e32 v3, v1, v3
	v_lshrrev_b32_e32 v3, s17, v3
	v_mul_lo_u32 v3, v3, s15
	v_sub_nc_u32_e32 v3, v1, v3
	v_mad_u64_u32 v[0:1], null, v3, s10, v[0:1]
	v_mad_u64_u32 v[2:3], null, v3, s11, v[2:3]
.LBB13_148:
	s_waitcnt lgkmcnt(0)
	global_load_dword v1, v2, s[6:7]
	v_mov_b32_e32 v2, 0
	s_mov_b32 s20, exec_lo
	s_waitcnt vmcnt(0)
	v_cmpx_neq_f32_e64 0x7f800000, |v1|
	s_cbranch_execz .LBB13_158
; %bb.149:
                                        ; implicit-def: $vgpr2
	s_mov_b32 s1, exec_lo
	v_cmpx_nlt_f32_e64 |v1|, 0.5
	s_xor_b32 s21, exec_lo, s1
	s_cbranch_execz .LBB13_155
; %bb.150:
	v_and_b32_e32 v2, 0x7fffffff, v1
                                        ; implicit-def: $vgpr5
                                        ; implicit-def: $vgpr3
	s_mov_b32 s1, exec_lo
	v_cmpx_ngt_f32_e64 0x48000000, |v1|
	s_xor_b32 s31, exec_lo, s1
	s_cbranch_execz .LBB13_152
; %bb.151:
	s_mov_b32 s0, 0x7fffff
	v_mov_b32_e32 v7, 0
	v_and_or_b32 v3, v2, s0, 0x800000
	v_lshrrev_b32_e32 v12, 23, v2
	v_mad_u64_u32 v[5:6], null, 0xfe5163ab, v3, 0
	v_add_nc_u32_e32 v13, 0xffffff88, v12
	v_cmp_lt_u32_e32 vcc_lo, 63, v13
	v_mad_u64_u32 v[8:9], null, 0x3c439041, v3, v[6:7]
	v_cndmask_b32_e64 v14, 0, 0xffffffc0, vcc_lo
	v_mov_b32_e32 v6, v9
	v_add_nc_u32_e32 v14, v14, v13
	v_mad_u64_u32 v[9:10], null, 0xdb629599, v3, v[6:7]
	v_cmp_lt_u32_e64 s0, 31, v14
	v_cndmask_b32_e64 v15, 0, 0xffffffe0, s0
	v_mov_b32_e32 v6, v10
	v_cndmask_b32_e32 v5, v9, v5, vcc_lo
	v_mad_u64_u32 v[10:11], null, 0xf534ddc0, v3, v[6:7]
	v_mov_b32_e32 v6, v11
	v_cndmask_b32_e32 v8, v10, v8, vcc_lo
	v_mad_u64_u32 v[11:12], null, 0xfc2757d1, v3, v[6:7]
	v_cndmask_b32_e64 v5, v8, v5, s0
	v_mov_b32_e32 v6, v12
	v_mad_u64_u32 v[12:13], null, 0x4e441529, v3, v[6:7]
	v_mov_b32_e32 v6, v13
	v_add_nc_u32_e32 v13, v15, v14
	v_cndmask_b32_e32 v14, v12, v10, vcc_lo
	v_mad_u64_u32 v[6:7], null, 0xa2f9836e, v3, v[6:7]
	v_cmp_lt_u32_e64 s1, 31, v13
	v_cndmask_b32_e64 v3, 0, 0xffffffe0, s1
	v_cndmask_b32_e32 v6, v6, v11, vcc_lo
	v_cndmask_b32_e32 v7, v7, v12, vcc_lo
	;; [unrolled: 1-line block ×3, first 2 shown]
	v_add_nc_u32_e32 v3, v3, v13
	v_cndmask_b32_e64 v10, v6, v14, s0
	v_cndmask_b32_e64 v6, v7, v6, s0
	;; [unrolled: 1-line block ×4, first 2 shown]
	v_sub_nc_u32_e32 v12, 32, v3
	v_cmp_eq_u32_e32 vcc_lo, 0, v3
	v_cndmask_b32_e64 v6, v6, v10, s1
	v_cndmask_b32_e64 v10, v10, v7, s1
	;; [unrolled: 1-line block ×4, first 2 shown]
	v_alignbit_b32 v13, v6, v10, v12
	v_alignbit_b32 v9, v10, v7, v12
	;; [unrolled: 1-line block ×3, first 2 shown]
	v_cndmask_b32_e32 v3, v13, v6, vcc_lo
	v_cndmask_b32_e32 v6, v9, v10, vcc_lo
	;; [unrolled: 1-line block ×3, first 2 shown]
	v_bfe_u32 v8, v3, 29, 1
	v_alignbit_b32 v9, v3, v6, 30
	v_alignbit_b32 v6, v6, v7, 30
	;; [unrolled: 1-line block ×3, first 2 shown]
	v_sub_nc_u32_e32 v10, 0, v8
	v_xor_b32_e32 v9, v9, v10
	v_xor_b32_e32 v6, v6, v10
	v_xor_b32_e32 v5, v5, v10
	v_lshrrev_b32_e32 v10, 29, v3
	v_ffbh_u32_e32 v11, v9
	v_min_u32_e32 v11, 32, v11
	v_sub_nc_u32_e32 v7, 31, v11
	v_lshlrev_b32_e32 v12, 23, v11
	v_alignbit_b32 v9, v9, v6, v7
	v_alignbit_b32 v5, v6, v5, v7
	v_lshlrev_b32_e32 v6, 31, v10
	v_alignbit_b32 v7, v9, v5, 9
	v_or_b32_e32 v10, 0.5, v6
	v_lshrrev_b32_e32 v9, 9, v9
	v_or_b32_e32 v6, 0x33000000, v6
	v_ffbh_u32_e32 v13, v7
	v_sub_nc_u32_e32 v10, v10, v12
	v_min_u32_e32 v12, 32, v13
	v_or_b32_e32 v9, v9, v10
	v_not_b32_e32 v10, v12
	v_mul_f32_e32 v13, 0x3fc90fda, v9
	v_add_lshl_u32 v11, v12, v11, 23
	v_alignbit_b32 v5, v7, v5, v10
	v_fma_f32 v7, 0x3fc90fda, v9, -v13
	v_sub_nc_u32_e32 v6, v6, v11
	v_lshrrev_b32_e32 v5, 9, v5
	v_fmamk_f32 v7, v9, 0x33a22168, v7
	v_or_b32_e32 v5, v6, v5
	v_fmac_f32_e32 v7, 0x3fc90fda, v5
	v_lshrrev_b32_e32 v5, 30, v3
	v_add_f32_e32 v3, v13, v7
	v_add_nc_u32_e32 v5, v8, v5
.LBB13_152:
	s_andn2_saveexec_b32 s0, s31
; %bb.153:
	v_mul_f32_e64 v3, 0x3f22f983, |v1|
	v_rndne_f32_e32 v5, v3
	v_fma_f32 v3, 0xbfc90fda, v5, |v1|
	v_fmamk_f32 v3, v5, 0xb3a22168, v3
	v_fmamk_f32 v3, v5, 0xa7c234c4, v3
	v_cvt_i32_f32_e32 v5, v5
; %bb.154:
	s_or_b32 exec_lo, exec_lo, s0
	v_mul_f32_e32 v6, v3, v3
	s_mov_b32 s0, 0xb94c1982
	s_mov_b32 s1, 0x37d75334
	v_and_b32_e32 v9, 1, v5
	v_lshlrev_b32_e32 v5, 30, v5
	v_fmaak_f32 v7, s0, v6, 0x3c0881c4
	v_fmaak_f32 v8, s1, v6, 0xbab64f3b
	v_xor_b32_e32 v2, v2, v1
	v_cmp_eq_u32_e32 vcc_lo, 0, v9
	v_and_b32_e32 v5, 0x80000000, v5
	v_fmaak_f32 v7, v6, v7, 0xbe2aaa9d
	v_fmaak_f32 v8, v6, v8, 0x3d2aabf7
	v_mul_f32_e32 v7, v6, v7
	v_fmaak_f32 v8, v6, v8, 0xbf000004
	v_fmac_f32_e32 v3, v3, v7
	v_fma_f32 v6, v6, v8, 1.0
	v_cndmask_b32_e32 v3, v6, v3, vcc_lo
	v_cmp_class_f32_e64 vcc_lo, v1, 0x1f8
	v_xor3_b32 v2, v2, v5, v3
	v_cndmask_b32_e32 v2, 0x7fc00000, v2, vcc_lo
	v_div_scale_f32 v3, null, v1, v1, v2
	v_rcp_f32_e32 v5, v3
	v_fma_f32 v6, -v3, v5, 1.0
	v_fmac_f32_e32 v5, v6, v5
	v_div_scale_f32 v6, vcc_lo, v2, v1, v2
	v_mul_f32_e32 v7, v6, v5
	v_fma_f32 v8, -v3, v7, v6
	v_fmac_f32_e32 v7, v8, v5
	v_fma_f32 v3, -v3, v7, v6
	v_div_fmas_f32 v3, v3, v5, v7
	v_div_fixup_f32 v2, v3, v1, v2
                                        ; implicit-def: $vgpr1
.LBB13_155:
	s_andn2_saveexec_b32 s0, s21
	s_cbranch_execz .LBB13_157
; %bb.156:
	v_mul_f32_e32 v1, v1, v1
	s_mov_b32 s1, 0x2f309231
	v_fmaak_f32 v2, s1, v1, 0xb2d7322b
	v_fmaak_f32 v2, v1, v2, 0x3638ef1d
	;; [unrolled: 1-line block ×5, first 2 shown]
	v_fma_f32 v2, v1, v2, 1.0
.LBB13_157:
	s_or_b32 exec_lo, exec_lo, s0
.LBB13_158:
	s_or_b32 exec_lo, exec_lo, s20
	v_add_nc_u32_e32 v4, 0x80, v4
	global_store_dword v0, v2, s[4:5]
	s_or_b32 exec_lo, exec_lo, s30
	s_mov_b32 s30, exec_lo
	v_cmpx_gt_i32_e64 s27, v4
	s_cbranch_execnz .LBB13_134
.LBB13_159:
	s_or_b32 exec_lo, exec_lo, s30
	s_mov_b32 s20, exec_lo
	v_cmpx_gt_i32_e64 s27, v4
	s_cbranch_execnz .LBB13_180
.LBB13_160:
	s_or_b32 exec_lo, exec_lo, s20
                                        ; implicit-def: $vgpr10
                                        ; implicit-def: $vgpr4
	s_andn2_saveexec_b32 s0, s25
	s_cbranch_execnz .LBB13_8
.LBB13_161:
	s_endpgm
.LBB13_162:
	v_mov_b32_e32 v0, 0
	v_mov_b32_e32 v2, 0
	;; [unrolled: 1-line block ×3, first 2 shown]
	s_mov_b32 s31, 0
.LBB13_163:
	s_and_b32 s33, s33, 3
	s_cmp_eq_u32 s33, 0
	s_cbranch_scc1 .LBB13_166
; %bb.164:
	s_lshl_b32 s0, s31, 3
	s_mul_i32 s20, s31, 12
	s_add_u32 s0, s2, s0
	s_addc_u32 s1, s3, 0
	s_add_u32 s0, s0, 0xc4
	s_addc_u32 s1, s1, 0
	;; [unrolled: 2-line block ×3, first 2 shown]
	.p2align	6
.LBB13_165:                             ; =>This Inner Loop Header: Depth=1
	s_clause 0x1
	s_load_dwordx2 s[34:35], s[20:21], 0x4
	s_load_dword s31, s[20:21], 0xc
	s_load_dwordx2 s[36:37], s[0:1], 0x0
	s_add_u32 s20, s20, 12
	s_addc_u32 s21, s21, 0
	s_add_u32 s0, s0, 8
	s_addc_u32 s1, s1, 0
	s_add_i32 s33, s33, -1
	s_cmp_lg_u32 s33, 0
	s_waitcnt lgkmcnt(0)
	v_mul_hi_u32 v3, s35, v1
	v_add_nc_u32_e32 v3, v1, v3
	v_lshrrev_b32_e32 v5, s31, v3
	v_mul_lo_u32 v3, v5, s34
	v_sub_nc_u32_e32 v3, v1, v3
	v_mad_u64_u32 v[0:1], null, v3, s36, v[0:1]
	v_mad_u64_u32 v[2:3], null, v3, s37, v[2:3]
	v_mov_b32_e32 v1, v5
	s_cbranch_scc1 .LBB13_165
.LBB13_166:
	s_cbranch_execnz .LBB13_169
.LBB13_167:
	s_waitcnt lgkmcnt(0)
	v_mul_hi_u32 v0, s13, v4
	s_andn2_b32 vcc_lo, exec_lo, s26
	v_add_nc_u32_e32 v0, v4, v0
	v_lshrrev_b32_e32 v1, s14, v0
	v_mul_lo_u32 v0, v1, s12
	v_sub_nc_u32_e32 v2, v4, v0
	v_mul_lo_u32 v0, v2, s8
	v_mul_lo_u32 v2, v2, s9
	s_cbranch_vccnz .LBB13_169
; %bb.168:
	v_mul_hi_u32 v3, s16, v1
	v_add_nc_u32_e32 v3, v1, v3
	v_lshrrev_b32_e32 v3, s17, v3
	v_mul_lo_u32 v3, v3, s15
	v_sub_nc_u32_e32 v3, v1, v3
	v_mad_u64_u32 v[0:1], null, v3, s10, v[0:1]
	v_mad_u64_u32 v[2:3], null, v3, s11, v[2:3]
.LBB13_169:
	s_waitcnt lgkmcnt(0)
	global_load_dword v1, v2, s[6:7]
	v_mov_b32_e32 v2, 0
	s_mov_b32 s20, exec_lo
	s_waitcnt vmcnt(0)
	v_cmpx_neq_f32_e64 0x7f800000, |v1|
	s_cbranch_execz .LBB13_179
; %bb.170:
                                        ; implicit-def: $vgpr2
	s_mov_b32 s1, exec_lo
	v_cmpx_nlt_f32_e64 |v1|, 0.5
	s_xor_b32 s21, exec_lo, s1
	s_cbranch_execz .LBB13_176
; %bb.171:
	v_and_b32_e32 v2, 0x7fffffff, v1
                                        ; implicit-def: $vgpr5
                                        ; implicit-def: $vgpr3
	s_mov_b32 s1, exec_lo
	v_cmpx_ngt_f32_e64 0x48000000, |v1|
	s_xor_b32 s31, exec_lo, s1
	s_cbranch_execz .LBB13_173
; %bb.172:
	s_mov_b32 s0, 0x7fffff
	v_mov_b32_e32 v7, 0
	v_and_or_b32 v3, v2, s0, 0x800000
	v_lshrrev_b32_e32 v12, 23, v2
	v_mad_u64_u32 v[5:6], null, 0xfe5163ab, v3, 0
	v_add_nc_u32_e32 v13, 0xffffff88, v12
	v_cmp_lt_u32_e32 vcc_lo, 63, v13
	v_mad_u64_u32 v[8:9], null, 0x3c439041, v3, v[6:7]
	v_cndmask_b32_e64 v14, 0, 0xffffffc0, vcc_lo
	v_mov_b32_e32 v6, v9
	v_add_nc_u32_e32 v14, v14, v13
	v_mad_u64_u32 v[9:10], null, 0xdb629599, v3, v[6:7]
	v_cmp_lt_u32_e64 s0, 31, v14
	v_cndmask_b32_e64 v15, 0, 0xffffffe0, s0
	v_mov_b32_e32 v6, v10
	v_cndmask_b32_e32 v5, v9, v5, vcc_lo
	v_mad_u64_u32 v[10:11], null, 0xf534ddc0, v3, v[6:7]
	v_mov_b32_e32 v6, v11
	v_cndmask_b32_e32 v8, v10, v8, vcc_lo
	v_mad_u64_u32 v[11:12], null, 0xfc2757d1, v3, v[6:7]
	v_cndmask_b32_e64 v5, v8, v5, s0
	v_mov_b32_e32 v6, v12
	v_mad_u64_u32 v[12:13], null, 0x4e441529, v3, v[6:7]
	v_mov_b32_e32 v6, v13
	v_add_nc_u32_e32 v13, v15, v14
	v_cndmask_b32_e32 v14, v12, v10, vcc_lo
	v_mad_u64_u32 v[6:7], null, 0xa2f9836e, v3, v[6:7]
	v_cmp_lt_u32_e64 s1, 31, v13
	v_cndmask_b32_e64 v3, 0, 0xffffffe0, s1
	v_cndmask_b32_e32 v6, v6, v11, vcc_lo
	v_cndmask_b32_e32 v7, v7, v12, vcc_lo
	;; [unrolled: 1-line block ×3, first 2 shown]
	v_add_nc_u32_e32 v3, v3, v13
	v_cndmask_b32_e64 v10, v6, v14, s0
	v_cndmask_b32_e64 v6, v7, v6, s0
	v_cndmask_b32_e64 v7, v14, v11, s0
	v_cndmask_b32_e64 v11, v11, v8, s0
	v_sub_nc_u32_e32 v12, 32, v3
	v_cmp_eq_u32_e32 vcc_lo, 0, v3
	v_cndmask_b32_e64 v6, v6, v10, s1
	v_cndmask_b32_e64 v10, v10, v7, s1
	;; [unrolled: 1-line block ×4, first 2 shown]
	v_alignbit_b32 v13, v6, v10, v12
	v_alignbit_b32 v9, v10, v7, v12
	v_alignbit_b32 v11, v7, v5, v12
	v_cndmask_b32_e32 v3, v13, v6, vcc_lo
	v_cndmask_b32_e32 v6, v9, v10, vcc_lo
	;; [unrolled: 1-line block ×3, first 2 shown]
	v_bfe_u32 v8, v3, 29, 1
	v_alignbit_b32 v9, v3, v6, 30
	v_alignbit_b32 v6, v6, v7, 30
	;; [unrolled: 1-line block ×3, first 2 shown]
	v_sub_nc_u32_e32 v10, 0, v8
	v_xor_b32_e32 v9, v9, v10
	v_xor_b32_e32 v6, v6, v10
	;; [unrolled: 1-line block ×3, first 2 shown]
	v_lshrrev_b32_e32 v10, 29, v3
	v_ffbh_u32_e32 v11, v9
	v_min_u32_e32 v11, 32, v11
	v_sub_nc_u32_e32 v7, 31, v11
	v_lshlrev_b32_e32 v12, 23, v11
	v_alignbit_b32 v9, v9, v6, v7
	v_alignbit_b32 v5, v6, v5, v7
	v_lshlrev_b32_e32 v6, 31, v10
	v_alignbit_b32 v7, v9, v5, 9
	v_or_b32_e32 v10, 0.5, v6
	v_lshrrev_b32_e32 v9, 9, v9
	v_or_b32_e32 v6, 0x33000000, v6
	v_ffbh_u32_e32 v13, v7
	v_sub_nc_u32_e32 v10, v10, v12
	v_min_u32_e32 v12, 32, v13
	v_or_b32_e32 v9, v9, v10
	v_not_b32_e32 v10, v12
	v_mul_f32_e32 v13, 0x3fc90fda, v9
	v_add_lshl_u32 v11, v12, v11, 23
	v_alignbit_b32 v5, v7, v5, v10
	v_fma_f32 v7, 0x3fc90fda, v9, -v13
	v_sub_nc_u32_e32 v6, v6, v11
	v_lshrrev_b32_e32 v5, 9, v5
	v_fmamk_f32 v7, v9, 0x33a22168, v7
	v_or_b32_e32 v5, v6, v5
	v_fmac_f32_e32 v7, 0x3fc90fda, v5
	v_lshrrev_b32_e32 v5, 30, v3
	v_add_f32_e32 v3, v13, v7
	v_add_nc_u32_e32 v5, v8, v5
.LBB13_173:
	s_andn2_saveexec_b32 s0, s31
; %bb.174:
	v_mul_f32_e64 v3, 0x3f22f983, |v1|
	v_rndne_f32_e32 v5, v3
	v_fma_f32 v3, 0xbfc90fda, v5, |v1|
	v_fmamk_f32 v3, v5, 0xb3a22168, v3
	v_fmamk_f32 v3, v5, 0xa7c234c4, v3
	v_cvt_i32_f32_e32 v5, v5
; %bb.175:
	s_or_b32 exec_lo, exec_lo, s0
	v_mul_f32_e32 v6, v3, v3
	s_mov_b32 s0, 0xb94c1982
	s_mov_b32 s1, 0x37d75334
	v_and_b32_e32 v9, 1, v5
	v_lshlrev_b32_e32 v5, 30, v5
	v_fmaak_f32 v7, s0, v6, 0x3c0881c4
	v_fmaak_f32 v8, s1, v6, 0xbab64f3b
	v_xor_b32_e32 v2, v2, v1
	v_cmp_eq_u32_e32 vcc_lo, 0, v9
	v_and_b32_e32 v5, 0x80000000, v5
	v_fmaak_f32 v7, v6, v7, 0xbe2aaa9d
	v_fmaak_f32 v8, v6, v8, 0x3d2aabf7
	v_mul_f32_e32 v7, v6, v7
	v_fmaak_f32 v8, v6, v8, 0xbf000004
	v_fmac_f32_e32 v3, v3, v7
	v_fma_f32 v6, v6, v8, 1.0
	v_cndmask_b32_e32 v3, v6, v3, vcc_lo
	v_cmp_class_f32_e64 vcc_lo, v1, 0x1f8
	v_xor3_b32 v2, v2, v5, v3
	v_cndmask_b32_e32 v2, 0x7fc00000, v2, vcc_lo
	v_div_scale_f32 v3, null, v1, v1, v2
	v_rcp_f32_e32 v5, v3
	v_fma_f32 v6, -v3, v5, 1.0
	v_fmac_f32_e32 v5, v6, v5
	v_div_scale_f32 v6, vcc_lo, v2, v1, v2
	v_mul_f32_e32 v7, v6, v5
	v_fma_f32 v8, -v3, v7, v6
	v_fmac_f32_e32 v7, v8, v5
	v_fma_f32 v3, -v3, v7, v6
	v_div_fmas_f32 v3, v3, v5, v7
	v_div_fixup_f32 v2, v3, v1, v2
                                        ; implicit-def: $vgpr1
.LBB13_176:
	s_andn2_saveexec_b32 s0, s21
	s_cbranch_execz .LBB13_178
; %bb.177:
	v_mul_f32_e32 v1, v1, v1
	s_mov_b32 s1, 0x2f309231
	v_fmaak_f32 v2, s1, v1, 0xb2d7322b
	v_fmaak_f32 v2, v1, v2, 0x3638ef1d
	;; [unrolled: 1-line block ×5, first 2 shown]
	v_fma_f32 v2, v1, v2, 1.0
.LBB13_178:
	s_or_b32 exec_lo, exec_lo, s0
.LBB13_179:
	s_or_b32 exec_lo, exec_lo, s20
	v_add_nc_u32_e32 v4, 0x80, v4
	global_store_dword v0, v2, s[4:5]
	s_or_b32 exec_lo, exec_lo, s30
	s_mov_b32 s20, exec_lo
	v_cmpx_gt_i32_e64 s27, v4
	s_cbranch_execz .LBB13_160
.LBB13_180:
	s_andn2_b32 vcc_lo, exec_lo, s24
	s_cbranch_vccnz .LBB13_185
; %bb.181:
	s_andn2_b32 vcc_lo, exec_lo, s29
	s_cbranch_vccnz .LBB13_186
; %bb.182:
	s_add_i32 s28, s28, 1
	s_cmp_eq_u32 s23, 2
	s_cbranch_scc1 .LBB13_187
; %bb.183:
	v_mov_b32_e32 v2, 0
	v_mov_b32_e32 v0, 0
	;; [unrolled: 1-line block ×3, first 2 shown]
	s_and_b32 s21, s28, 28
	s_mov_b32 s27, 0
	s_mov_b64 s[0:1], s[2:3]
.LBB13_184:                             ; =>This Inner Loop Header: Depth=1
	s_clause 0x1
	s_load_dwordx8 s[36:43], s[0:1], 0x4
	s_load_dwordx4 s[52:55], s[0:1], 0x24
	s_load_dwordx8 s[44:51], s[18:19], 0x0
	s_add_u32 s0, s0, 48
	s_addc_u32 s1, s1, 0
	s_add_i32 s27, s27, 4
	s_add_u32 s18, s18, 32
	s_addc_u32 s19, s19, 0
	s_cmp_eq_u32 s21, s27
	s_waitcnt lgkmcnt(0)
	v_mul_hi_u32 v3, s37, v1
	v_add_nc_u32_e32 v3, v1, v3
	v_lshrrev_b32_e32 v3, s38, v3
	v_mul_hi_u32 v5, s40, v3
	v_mul_lo_u32 v7, v3, s36
	v_add_nc_u32_e32 v5, v3, v5
	v_sub_nc_u32_e32 v1, v1, v7
	v_lshrrev_b32_e32 v5, s41, v5
	v_mul_lo_u32 v7, v1, s44
	v_mul_lo_u32 v9, v1, s45
	v_mul_hi_u32 v6, s43, v5
	v_add_nc_u32_e32 v6, v5, v6
	v_lshrrev_b32_e32 v6, s52, v6
	v_mul_hi_u32 v8, s54, v6
	v_mul_lo_u32 v10, v6, s42
	v_add_nc_u32_e32 v1, v6, v8
	v_mul_lo_u32 v8, v5, s39
	v_sub_nc_u32_e32 v5, v5, v10
	v_lshrrev_b32_e32 v1, s55, v1
	v_mul_lo_u32 v10, v5, s48
	v_mul_lo_u32 v5, v5, s49
	v_sub_nc_u32_e32 v3, v3, v8
	v_mul_lo_u32 v11, v1, s53
	v_mul_lo_u32 v8, v3, s46
	;; [unrolled: 1-line block ×3, first 2 shown]
	v_sub_nc_u32_e32 v6, v6, v11
	v_add3_u32 v0, v7, v0, v8
	v_mul_lo_u32 v11, v6, s50
	v_mul_lo_u32 v6, v6, s51
	v_add3_u32 v2, v9, v2, v3
	v_add3_u32 v0, v10, v0, v11
	;; [unrolled: 1-line block ×3, first 2 shown]
	s_cbranch_scc0 .LBB13_184
	s_branch .LBB13_188
.LBB13_185:
                                        ; implicit-def: $vgpr0
                                        ; implicit-def: $vgpr2
	s_branch .LBB13_192
.LBB13_186:
	v_mov_b32_e32 v0, 0
	v_mov_b32_e32 v2, 0
	s_branch .LBB13_191
.LBB13_187:
	v_mov_b32_e32 v0, 0
	v_mov_b32_e32 v2, 0
	;; [unrolled: 1-line block ×3, first 2 shown]
	s_mov_b32 s21, 0
.LBB13_188:
	s_and_b32 s27, s28, 3
	s_cmp_eq_u32 s27, 0
	s_cbranch_scc1 .LBB13_191
; %bb.189:
	s_lshl_b32 s0, s21, 3
	s_mul_i32 s18, s21, 12
	s_add_u32 s0, s2, s0
	s_addc_u32 s1, s3, 0
	s_add_u32 s0, s0, 0xc4
	s_addc_u32 s1, s1, 0
	;; [unrolled: 2-line block ×3, first 2 shown]
	.p2align	6
.LBB13_190:                             ; =>This Inner Loop Header: Depth=1
	s_clause 0x1
	s_load_dwordx2 s[28:29], s[18:19], 0x4
	s_load_dword s21, s[18:19], 0xc
	s_load_dwordx2 s[30:31], s[0:1], 0x0
	s_add_u32 s18, s18, 12
	s_addc_u32 s19, s19, 0
	s_add_u32 s0, s0, 8
	s_addc_u32 s1, s1, 0
	s_add_i32 s27, s27, -1
	s_cmp_lg_u32 s27, 0
	s_waitcnt lgkmcnt(0)
	v_mul_hi_u32 v3, s29, v1
	v_add_nc_u32_e32 v3, v1, v3
	v_lshrrev_b32_e32 v5, s21, v3
	v_mul_lo_u32 v3, v5, s28
	v_sub_nc_u32_e32 v3, v1, v3
	v_mad_u64_u32 v[0:1], null, v3, s30, v[0:1]
	v_mad_u64_u32 v[2:3], null, v3, s31, v[2:3]
	v_mov_b32_e32 v1, v5
	s_cbranch_scc1 .LBB13_190
.LBB13_191:
	s_cbranch_execnz .LBB13_194
.LBB13_192:
	s_waitcnt lgkmcnt(0)
	v_mul_hi_u32 v0, s13, v4
	s_andn2_b32 vcc_lo, exec_lo, s26
	v_add_nc_u32_e32 v0, v4, v0
	v_lshrrev_b32_e32 v1, s14, v0
	v_mul_lo_u32 v0, v1, s12
	v_sub_nc_u32_e32 v2, v4, v0
	v_mul_lo_u32 v0, v2, s8
	v_mul_lo_u32 v2, v2, s9
	s_cbranch_vccnz .LBB13_194
; %bb.193:
	v_mul_hi_u32 v3, s16, v1
	v_add_nc_u32_e32 v3, v1, v3
	v_lshrrev_b32_e32 v3, s17, v3
	v_mul_lo_u32 v3, v3, s15
	v_sub_nc_u32_e32 v3, v1, v3
	v_mad_u64_u32 v[0:1], null, v3, s10, v[0:1]
	v_mad_u64_u32 v[2:3], null, v3, s11, v[2:3]
.LBB13_194:
	s_waitcnt lgkmcnt(0)
	global_load_dword v1, v2, s[6:7]
	v_mov_b32_e32 v2, 0
	s_mov_b32 s6, exec_lo
	s_waitcnt vmcnt(0)
	v_cmpx_neq_f32_e64 0x7f800000, |v1|
	s_cbranch_execz .LBB13_204
; %bb.195:
                                        ; implicit-def: $vgpr2
	s_mov_b32 s1, exec_lo
	v_cmpx_nlt_f32_e64 |v1|, 0.5
	s_xor_b32 s7, exec_lo, s1
	s_cbranch_execz .LBB13_201
; %bb.196:
	v_and_b32_e32 v2, 0x7fffffff, v1
                                        ; implicit-def: $vgpr4
                                        ; implicit-def: $vgpr3
	s_mov_b32 s1, exec_lo
	v_cmpx_ngt_f32_e64 0x48000000, |v1|
	s_xor_b32 s8, exec_lo, s1
	s_cbranch_execz .LBB13_198
; %bb.197:
	s_mov_b32 s0, 0x7fffff
	v_mov_b32_e32 v5, 0
	v_and_or_b32 v12, v2, s0, 0x800000
	v_lshrrev_b32_e32 v10, 23, v2
	v_mad_u64_u32 v[3:4], null, 0xfe5163ab, v12, 0
	v_add_nc_u32_e32 v11, 0xffffff88, v10
	v_cmp_lt_u32_e32 vcc_lo, 63, v11
	v_mad_u64_u32 v[6:7], null, 0x3c439041, v12, v[4:5]
	v_cndmask_b32_e64 v13, 0, 0xffffffc0, vcc_lo
	v_mov_b32_e32 v4, v7
	v_add_nc_u32_e32 v13, v13, v11
	v_mad_u64_u32 v[7:8], null, 0xdb629599, v12, v[4:5]
	v_cmp_lt_u32_e64 s0, 31, v13
	v_cndmask_b32_e64 v14, 0, 0xffffffe0, s0
	v_mov_b32_e32 v4, v8
	v_cndmask_b32_e32 v3, v7, v3, vcc_lo
	v_mad_u64_u32 v[8:9], null, 0xf534ddc0, v12, v[4:5]
	v_mov_b32_e32 v4, v9
	v_cndmask_b32_e32 v6, v8, v6, vcc_lo
	v_mad_u64_u32 v[9:10], null, 0xfc2757d1, v12, v[4:5]
	v_cndmask_b32_e64 v3, v6, v3, s0
	v_mov_b32_e32 v4, v10
	v_mad_u64_u32 v[10:11], null, 0x4e441529, v12, v[4:5]
	v_mov_b32_e32 v4, v11
	v_add_nc_u32_e32 v11, v14, v13
	v_cndmask_b32_e32 v13, v10, v8, vcc_lo
	v_mad_u64_u32 v[4:5], null, 0xa2f9836e, v12, v[4:5]
	v_cmp_lt_u32_e64 s1, 31, v11
	v_cndmask_b32_e64 v12, 0, 0xffffffe0, s1
	v_cndmask_b32_e32 v4, v4, v9, vcc_lo
	v_cndmask_b32_e32 v5, v5, v10, vcc_lo
	;; [unrolled: 1-line block ×3, first 2 shown]
	v_add_nc_u32_e32 v10, v12, v11
	v_cndmask_b32_e64 v8, v4, v13, s0
	v_cndmask_b32_e64 v4, v5, v4, s0
	;; [unrolled: 1-line block ×4, first 2 shown]
	v_sub_nc_u32_e32 v11, 32, v10
	v_cmp_eq_u32_e32 vcc_lo, 0, v10
	v_cndmask_b32_e64 v4, v4, v8, s1
	v_cndmask_b32_e64 v8, v8, v5, s1
	;; [unrolled: 1-line block ×4, first 2 shown]
	v_alignbit_b32 v12, v4, v8, v11
	v_alignbit_b32 v7, v8, v5, v11
	;; [unrolled: 1-line block ×3, first 2 shown]
	v_cndmask_b32_e32 v4, v12, v4, vcc_lo
	v_cndmask_b32_e32 v6, v7, v8, vcc_lo
	;; [unrolled: 1-line block ×3, first 2 shown]
	v_bfe_u32 v7, v4, 29, 1
	v_alignbit_b32 v8, v4, v6, 30
	v_alignbit_b32 v6, v6, v5, 30
	;; [unrolled: 1-line block ×3, first 2 shown]
	v_sub_nc_u32_e32 v9, 0, v7
	v_xor_b32_e32 v8, v8, v9
	v_xor_b32_e32 v5, v6, v9
	;; [unrolled: 1-line block ×3, first 2 shown]
	v_lshrrev_b32_e32 v9, 29, v4
	v_lshrrev_b32_e32 v4, 30, v4
	v_ffbh_u32_e32 v10, v8
	v_add_nc_u32_e32 v4, v7, v4
	v_min_u32_e32 v10, 32, v10
	v_sub_nc_u32_e32 v6, 31, v10
	v_lshlrev_b32_e32 v11, 23, v10
	v_alignbit_b32 v8, v8, v5, v6
	v_alignbit_b32 v3, v5, v3, v6
	v_lshlrev_b32_e32 v5, 31, v9
	v_alignbit_b32 v6, v8, v3, 9
	v_or_b32_e32 v9, 0.5, v5
	v_lshrrev_b32_e32 v8, 9, v8
	v_or_b32_e32 v5, 0x33000000, v5
	v_ffbh_u32_e32 v12, v6
	v_sub_nc_u32_e32 v9, v9, v11
	v_min_u32_e32 v11, 32, v12
	v_or_b32_e32 v8, v8, v9
	v_not_b32_e32 v9, v11
	v_mul_f32_e32 v12, 0x3fc90fda, v8
	v_add_lshl_u32 v10, v11, v10, 23
	v_alignbit_b32 v3, v6, v3, v9
	v_fma_f32 v6, 0x3fc90fda, v8, -v12
	v_sub_nc_u32_e32 v5, v5, v10
	v_lshrrev_b32_e32 v3, 9, v3
	v_fmamk_f32 v6, v8, 0x33a22168, v6
	v_or_b32_e32 v3, v5, v3
	v_fmac_f32_e32 v6, 0x3fc90fda, v3
	v_add_f32_e32 v3, v12, v6
.LBB13_198:
	s_andn2_saveexec_b32 s0, s8
; %bb.199:
	v_mul_f32_e64 v3, 0x3f22f983, |v1|
	v_rndne_f32_e32 v4, v3
	v_fma_f32 v3, 0xbfc90fda, v4, |v1|
	v_fmamk_f32 v3, v4, 0xb3a22168, v3
	v_fmamk_f32 v3, v4, 0xa7c234c4, v3
	v_cvt_i32_f32_e32 v4, v4
; %bb.200:
	s_or_b32 exec_lo, exec_lo, s0
	v_mul_f32_e32 v5, v3, v3
	s_mov_b32 s0, 0xb94c1982
	s_mov_b32 s1, 0x37d75334
	v_and_b32_e32 v8, 1, v4
	v_lshlrev_b32_e32 v4, 30, v4
	v_fmaak_f32 v6, s0, v5, 0x3c0881c4
	v_fmaak_f32 v7, s1, v5, 0xbab64f3b
	v_xor_b32_e32 v2, v2, v1
	v_cmp_eq_u32_e32 vcc_lo, 0, v8
	v_and_b32_e32 v4, 0x80000000, v4
	v_fmaak_f32 v6, v5, v6, 0xbe2aaa9d
	v_fmaak_f32 v7, v5, v7, 0x3d2aabf7
	v_mul_f32_e32 v6, v5, v6
	v_fmaak_f32 v7, v5, v7, 0xbf000004
	v_fmac_f32_e32 v3, v3, v6
	v_fma_f32 v5, v5, v7, 1.0
	v_cndmask_b32_e32 v3, v5, v3, vcc_lo
	v_cmp_class_f32_e64 vcc_lo, v1, 0x1f8
	v_xor3_b32 v2, v2, v4, v3
	v_cndmask_b32_e32 v2, 0x7fc00000, v2, vcc_lo
	v_div_scale_f32 v3, null, v1, v1, v2
	v_rcp_f32_e32 v4, v3
	v_fma_f32 v5, -v3, v4, 1.0
	v_fmac_f32_e32 v4, v5, v4
	v_div_scale_f32 v5, vcc_lo, v2, v1, v2
	v_mul_f32_e32 v6, v5, v4
	v_fma_f32 v7, -v3, v6, v5
	v_fmac_f32_e32 v6, v7, v4
	v_fma_f32 v3, -v3, v6, v5
	v_div_fmas_f32 v3, v3, v4, v6
	v_div_fixup_f32 v2, v3, v1, v2
                                        ; implicit-def: $vgpr1
.LBB13_201:
	s_andn2_saveexec_b32 s0, s7
	s_cbranch_execz .LBB13_203
; %bb.202:
	v_mul_f32_e32 v1, v1, v1
	s_mov_b32 s1, 0x2f309231
	v_fmaak_f32 v2, s1, v1, 0xb2d7322b
	v_fmaak_f32 v2, v1, v2, 0x3638ef1d
	v_fmaak_f32 v2, v1, v2, 0xb9500d01
	v_fmaak_f32 v2, v1, v2, 0x3c088889
	v_fmaak_f32 v2, v1, v2, 0xbe2aaaab
	v_fma_f32 v2, v1, v2, 1.0
.LBB13_203:
	s_or_b32 exec_lo, exec_lo, s0
.LBB13_204:
	s_or_b32 exec_lo, exec_lo, s6
	global_store_dword v0, v2, s[4:5]
	s_or_b32 exec_lo, exec_lo, s20
                                        ; implicit-def: $vgpr10
                                        ; implicit-def: $vgpr4
	s_andn2_saveexec_b32 s0, s25
	s_cbranch_execz .LBB13_161
	s_branch .LBB13_8
	.section	.rodata,"a",@progbits
	.p2align	6, 0x0
	.amdhsa_kernel _ZN2at6native32elementwise_kernel_manual_unrollILi128ELi4EZNS0_22gpu_kernel_impl_nocastIZZZNS0_12_GLOBAL__N_131spherical_bessel_j0_kernel_cudaERNS_18TensorIteratorBaseEENKUlvE_clEvENKUlvE0_clEvEUlfE_EEvS5_RKT_EUlibE_EEviT1_
		.amdhsa_group_segment_fixed_size 0
		.amdhsa_private_segment_fixed_size 0
		.amdhsa_kernarg_size 360
		.amdhsa_user_sgpr_count 6
		.amdhsa_user_sgpr_private_segment_buffer 1
		.amdhsa_user_sgpr_dispatch_ptr 0
		.amdhsa_user_sgpr_queue_ptr 0
		.amdhsa_user_sgpr_kernarg_segment_ptr 1
		.amdhsa_user_sgpr_dispatch_id 0
		.amdhsa_user_sgpr_flat_scratch_init 0
		.amdhsa_user_sgpr_private_segment_size 0
		.amdhsa_wavefront_size32 1
		.amdhsa_uses_dynamic_stack 0
		.amdhsa_system_sgpr_private_segment_wavefront_offset 0
		.amdhsa_system_sgpr_workgroup_id_x 1
		.amdhsa_system_sgpr_workgroup_id_y 0
		.amdhsa_system_sgpr_workgroup_id_z 0
		.amdhsa_system_sgpr_workgroup_info 0
		.amdhsa_system_vgpr_workitem_id 0
		.amdhsa_next_free_vgpr 22
		.amdhsa_next_free_sgpr 56
		.amdhsa_reserve_vcc 1
		.amdhsa_reserve_flat_scratch 0
		.amdhsa_float_round_mode_32 0
		.amdhsa_float_round_mode_16_64 0
		.amdhsa_float_denorm_mode_32 3
		.amdhsa_float_denorm_mode_16_64 3
		.amdhsa_dx10_clamp 1
		.amdhsa_ieee_mode 1
		.amdhsa_fp16_overflow 0
		.amdhsa_workgroup_processor_mode 1
		.amdhsa_memory_ordered 1
		.amdhsa_forward_progress 1
		.amdhsa_shared_vgpr_count 0
		.amdhsa_exception_fp_ieee_invalid_op 0
		.amdhsa_exception_fp_denorm_src 0
		.amdhsa_exception_fp_ieee_div_zero 0
		.amdhsa_exception_fp_ieee_overflow 0
		.amdhsa_exception_fp_ieee_underflow 0
		.amdhsa_exception_fp_ieee_inexact 0
		.amdhsa_exception_int_div_zero 0
	.end_amdhsa_kernel
	.section	.text._ZN2at6native32elementwise_kernel_manual_unrollILi128ELi4EZNS0_22gpu_kernel_impl_nocastIZZZNS0_12_GLOBAL__N_131spherical_bessel_j0_kernel_cudaERNS_18TensorIteratorBaseEENKUlvE_clEvENKUlvE0_clEvEUlfE_EEvS5_RKT_EUlibE_EEviT1_,"axG",@progbits,_ZN2at6native32elementwise_kernel_manual_unrollILi128ELi4EZNS0_22gpu_kernel_impl_nocastIZZZNS0_12_GLOBAL__N_131spherical_bessel_j0_kernel_cudaERNS_18TensorIteratorBaseEENKUlvE_clEvENKUlvE0_clEvEUlfE_EEvS5_RKT_EUlibE_EEviT1_,comdat
.Lfunc_end13:
	.size	_ZN2at6native32elementwise_kernel_manual_unrollILi128ELi4EZNS0_22gpu_kernel_impl_nocastIZZZNS0_12_GLOBAL__N_131spherical_bessel_j0_kernel_cudaERNS_18TensorIteratorBaseEENKUlvE_clEvENKUlvE0_clEvEUlfE_EEvS5_RKT_EUlibE_EEviT1_, .Lfunc_end13-_ZN2at6native32elementwise_kernel_manual_unrollILi128ELi4EZNS0_22gpu_kernel_impl_nocastIZZZNS0_12_GLOBAL__N_131spherical_bessel_j0_kernel_cudaERNS_18TensorIteratorBaseEENKUlvE_clEvENKUlvE0_clEvEUlfE_EEvS5_RKT_EUlibE_EEviT1_
                                        ; -- End function
	.set _ZN2at6native32elementwise_kernel_manual_unrollILi128ELi4EZNS0_22gpu_kernel_impl_nocastIZZZNS0_12_GLOBAL__N_131spherical_bessel_j0_kernel_cudaERNS_18TensorIteratorBaseEENKUlvE_clEvENKUlvE0_clEvEUlfE_EEvS5_RKT_EUlibE_EEviT1_.num_vgpr, 22
	.set _ZN2at6native32elementwise_kernel_manual_unrollILi128ELi4EZNS0_22gpu_kernel_impl_nocastIZZZNS0_12_GLOBAL__N_131spherical_bessel_j0_kernel_cudaERNS_18TensorIteratorBaseEENKUlvE_clEvENKUlvE0_clEvEUlfE_EEvS5_RKT_EUlibE_EEviT1_.num_agpr, 0
	.set _ZN2at6native32elementwise_kernel_manual_unrollILi128ELi4EZNS0_22gpu_kernel_impl_nocastIZZZNS0_12_GLOBAL__N_131spherical_bessel_j0_kernel_cudaERNS_18TensorIteratorBaseEENKUlvE_clEvENKUlvE0_clEvEUlfE_EEvS5_RKT_EUlibE_EEviT1_.numbered_sgpr, 56
	.set _ZN2at6native32elementwise_kernel_manual_unrollILi128ELi4EZNS0_22gpu_kernel_impl_nocastIZZZNS0_12_GLOBAL__N_131spherical_bessel_j0_kernel_cudaERNS_18TensorIteratorBaseEENKUlvE_clEvENKUlvE0_clEvEUlfE_EEvS5_RKT_EUlibE_EEviT1_.num_named_barrier, 0
	.set _ZN2at6native32elementwise_kernel_manual_unrollILi128ELi4EZNS0_22gpu_kernel_impl_nocastIZZZNS0_12_GLOBAL__N_131spherical_bessel_j0_kernel_cudaERNS_18TensorIteratorBaseEENKUlvE_clEvENKUlvE0_clEvEUlfE_EEvS5_RKT_EUlibE_EEviT1_.private_seg_size, 0
	.set _ZN2at6native32elementwise_kernel_manual_unrollILi128ELi4EZNS0_22gpu_kernel_impl_nocastIZZZNS0_12_GLOBAL__N_131spherical_bessel_j0_kernel_cudaERNS_18TensorIteratorBaseEENKUlvE_clEvENKUlvE0_clEvEUlfE_EEvS5_RKT_EUlibE_EEviT1_.uses_vcc, 1
	.set _ZN2at6native32elementwise_kernel_manual_unrollILi128ELi4EZNS0_22gpu_kernel_impl_nocastIZZZNS0_12_GLOBAL__N_131spherical_bessel_j0_kernel_cudaERNS_18TensorIteratorBaseEENKUlvE_clEvENKUlvE0_clEvEUlfE_EEvS5_RKT_EUlibE_EEviT1_.uses_flat_scratch, 0
	.set _ZN2at6native32elementwise_kernel_manual_unrollILi128ELi4EZNS0_22gpu_kernel_impl_nocastIZZZNS0_12_GLOBAL__N_131spherical_bessel_j0_kernel_cudaERNS_18TensorIteratorBaseEENKUlvE_clEvENKUlvE0_clEvEUlfE_EEvS5_RKT_EUlibE_EEviT1_.has_dyn_sized_stack, 0
	.set _ZN2at6native32elementwise_kernel_manual_unrollILi128ELi4EZNS0_22gpu_kernel_impl_nocastIZZZNS0_12_GLOBAL__N_131spherical_bessel_j0_kernel_cudaERNS_18TensorIteratorBaseEENKUlvE_clEvENKUlvE0_clEvEUlfE_EEvS5_RKT_EUlibE_EEviT1_.has_recursion, 0
	.set _ZN2at6native32elementwise_kernel_manual_unrollILi128ELi4EZNS0_22gpu_kernel_impl_nocastIZZZNS0_12_GLOBAL__N_131spherical_bessel_j0_kernel_cudaERNS_18TensorIteratorBaseEENKUlvE_clEvENKUlvE0_clEvEUlfE_EEvS5_RKT_EUlibE_EEviT1_.has_indirect_call, 0
	.section	.AMDGPU.csdata,"",@progbits
; Kernel info:
; codeLenInByte = 13828
; TotalNumSgprs: 58
; NumVgprs: 22
; ScratchSize: 0
; MemoryBound: 0
; FloatMode: 240
; IeeeMode: 1
; LDSByteSize: 0 bytes/workgroup (compile time only)
; SGPRBlocks: 0
; VGPRBlocks: 2
; NumSGPRsForWavesPerEU: 58
; NumVGPRsForWavesPerEU: 22
; Occupancy: 16
; WaveLimiterHint : 1
; COMPUTE_PGM_RSRC2:SCRATCH_EN: 0
; COMPUTE_PGM_RSRC2:USER_SGPR: 6
; COMPUTE_PGM_RSRC2:TRAP_HANDLER: 0
; COMPUTE_PGM_RSRC2:TGID_X_EN: 1
; COMPUTE_PGM_RSRC2:TGID_Y_EN: 0
; COMPUTE_PGM_RSRC2:TGID_Z_EN: 0
; COMPUTE_PGM_RSRC2:TIDIG_COMP_CNT: 0
	.section	.text._ZN2at6native32elementwise_kernel_manual_unrollILi128ELi4EZNS0_15gpu_kernel_implIZZZNS0_12_GLOBAL__N_131spherical_bessel_j0_kernel_cudaERNS_18TensorIteratorBaseEENKUlvE_clEvENKUlvE0_clEvEUlfE_EEvS5_RKT_EUlibE_EEviT1_,"axG",@progbits,_ZN2at6native32elementwise_kernel_manual_unrollILi128ELi4EZNS0_15gpu_kernel_implIZZZNS0_12_GLOBAL__N_131spherical_bessel_j0_kernel_cudaERNS_18TensorIteratorBaseEENKUlvE_clEvENKUlvE0_clEvEUlfE_EEvS5_RKT_EUlibE_EEviT1_,comdat
	.globl	_ZN2at6native32elementwise_kernel_manual_unrollILi128ELi4EZNS0_15gpu_kernel_implIZZZNS0_12_GLOBAL__N_131spherical_bessel_j0_kernel_cudaERNS_18TensorIteratorBaseEENKUlvE_clEvENKUlvE0_clEvEUlfE_EEvS5_RKT_EUlibE_EEviT1_ ; -- Begin function _ZN2at6native32elementwise_kernel_manual_unrollILi128ELi4EZNS0_15gpu_kernel_implIZZZNS0_12_GLOBAL__N_131spherical_bessel_j0_kernel_cudaERNS_18TensorIteratorBaseEENKUlvE_clEvENKUlvE0_clEvEUlfE_EEvS5_RKT_EUlibE_EEviT1_
	.p2align	8
	.type	_ZN2at6native32elementwise_kernel_manual_unrollILi128ELi4EZNS0_15gpu_kernel_implIZZZNS0_12_GLOBAL__N_131spherical_bessel_j0_kernel_cudaERNS_18TensorIteratorBaseEENKUlvE_clEvENKUlvE0_clEvEUlfE_EEvS5_RKT_EUlibE_EEviT1_,@function
_ZN2at6native32elementwise_kernel_manual_unrollILi128ELi4EZNS0_15gpu_kernel_implIZZZNS0_12_GLOBAL__N_131spherical_bessel_j0_kernel_cudaERNS_18TensorIteratorBaseEENKUlvE_clEvENKUlvE0_clEvEUlfE_EEvS5_RKT_EUlibE_EEviT1_: ; @_ZN2at6native32elementwise_kernel_manual_unrollILi128ELi4EZNS0_15gpu_kernel_implIZZZNS0_12_GLOBAL__N_131spherical_bessel_j0_kernel_cudaERNS_18TensorIteratorBaseEENKUlvE_clEvENKUlvE0_clEvEUlfE_EEvS5_RKT_EUlibE_EEviT1_
; %bb.0:
	v_mov_b32_e32 v1, 0
	s_clause 0x2
	s_load_dword s13, s[4:5], 0x0
	s_load_dwordx2 s[2:3], s[4:5], 0x18
	s_load_dwordx4 s[8:11], s[4:5], 0x8
	v_lshl_or_b32 v7, s6, 9, v0
	s_mov_b32 s12, 0
	global_load_ushort v1, v1, s[4:5] offset:33
	s_mov_b32 s5, 0
	v_or_b32_e32 v0, 0x180, v7
	s_waitcnt vmcnt(0)
	v_readfirstlane_b32 s4, v1
	s_and_b32 s0, 0xffff, s4
	s_lshr_b32 s6, s0, 8
	s_mov_b32 s0, exec_lo
	s_waitcnt lgkmcnt(0)
	v_cmpx_le_i32_e64 s13, v0
	s_xor_b32 s7, exec_lo, s0
	s_cbranch_execz .LBB14_1071
; %bb.1:
	s_mov_b32 s1, -1
	s_mov_b32 s16, 0
	s_mov_b32 s14, 0
	s_mov_b32 s15, exec_lo
	v_cmpx_gt_i32_e64 s13, v7
	s_cbranch_execz .LBB14_262
; %bb.2:
	v_mul_lo_u32 v0, v7, s3
	s_and_b32 s0, 0xffff, s6
	s_cmp_lt_i32 s0, 11
	v_ashrrev_i32_e32 v1, 31, v0
	v_add_co_u32 v0, vcc_lo, s10, v0
	v_add_co_ci_u32_e64 v1, null, s11, v1, vcc_lo
	s_cbranch_scc1 .LBB14_9
; %bb.3:
	s_cmp_gt_i32 s0, 25
	s_cbranch_scc0 .LBB14_28
; %bb.4:
	s_cmp_gt_i32 s0, 28
	s_cbranch_scc0 .LBB14_31
	;; [unrolled: 3-line block ×4, first 2 shown]
; %bb.7:
	s_cmp_eq_u32 s0, 46
	s_cbranch_scc0 .LBB14_37
; %bb.8:
	global_load_dword v2, v[0:1], off
	s_waitcnt vmcnt(0)
	v_lshlrev_b32_e32 v2, 16, v2
	s_branch .LBB14_39
.LBB14_9:
	s_mov_b32 s1, 0
                                        ; implicit-def: $vgpr2
	s_cbranch_execnz .LBB14_212
.LBB14_10:
	s_andn2_b32 vcc_lo, exec_lo, s1
	s_cbranch_vccnz .LBB14_259
.LBB14_11:
	v_mov_b32_e32 v0, 0
	s_mov_b32 s12, exec_lo
	s_waitcnt vmcnt(0)
	v_cmpx_neq_f32_e64 0x7f800000, |v2|
	s_cbranch_execz .LBB14_21
; %bb.12:
                                        ; implicit-def: $vgpr0
	s_mov_b32 s1, exec_lo
	v_cmpx_nlt_f32_e64 |v2|, 0.5
	s_xor_b32 s17, exec_lo, s1
	s_cbranch_execz .LBB14_18
; %bb.13:
	v_and_b32_e32 v0, 0x7fffffff, v2
                                        ; implicit-def: $vgpr3
                                        ; implicit-def: $vgpr1
	s_mov_b32 s1, exec_lo
	v_cmpx_ngt_f32_e64 0x48000000, |v2|
	s_xor_b32 s18, exec_lo, s1
	s_cbranch_execz .LBB14_15
; %bb.14:
	s_mov_b32 s0, 0x7fffff
	v_mov_b32_e32 v5, 0
	v_and_or_b32 v1, v0, s0, 0x800000
	v_lshrrev_b32_e32 v6, 23, v0
	v_mad_u64_u32 v[3:4], null, 0xfe5163ab, v1, 0
	v_add_nc_u32_e32 v6, 0xffffff88, v6
	v_cmp_lt_u32_e32 vcc_lo, 63, v6
	v_mad_u64_u32 v[8:9], null, 0x3c439041, v1, v[4:5]
	v_cndmask_b32_e64 v13, 0, 0xffffffc0, vcc_lo
	v_mov_b32_e32 v4, v9
	v_add_nc_u32_e32 v6, v13, v6
	v_mad_u64_u32 v[9:10], null, 0xdb629599, v1, v[4:5]
	v_cmp_lt_u32_e64 s0, 31, v6
	v_cndmask_b32_e64 v14, 0, 0xffffffe0, s0
	v_mov_b32_e32 v4, v10
	v_cndmask_b32_e32 v3, v9, v3, vcc_lo
	v_add_nc_u32_e32 v6, v14, v6
	v_mad_u64_u32 v[10:11], null, 0xf534ddc0, v1, v[4:5]
	v_cmp_lt_u32_e64 s1, 31, v6
	v_mov_b32_e32 v4, v11
	v_mad_u64_u32 v[11:12], null, 0xfc2757d1, v1, v[4:5]
	v_mov_b32_e32 v4, v12
	v_mad_u64_u32 v[12:13], null, 0x4e441529, v1, v[4:5]
	v_mov_b32_e32 v4, v13
	v_cndmask_b32_e32 v13, v12, v10, vcc_lo
	v_mad_u64_u32 v[4:5], null, 0xa2f9836e, v1, v[4:5]
	v_cndmask_b32_e64 v1, 0, 0xffffffe0, s1
	v_add_nc_u32_e32 v1, v1, v6
	v_cndmask_b32_e32 v4, v4, v11, vcc_lo
	v_cndmask_b32_e32 v5, v5, v12, vcc_lo
	;; [unrolled: 1-line block ×4, first 2 shown]
	v_sub_nc_u32_e32 v10, 32, v1
	v_cndmask_b32_e64 v8, v4, v13, s0
	v_cndmask_b32_e64 v4, v5, v4, s0
	;; [unrolled: 1-line block ×4, first 2 shown]
	v_cmp_eq_u32_e32 vcc_lo, 0, v1
	v_cndmask_b32_e64 v3, v6, v3, s0
	v_cndmask_b32_e64 v4, v4, v8, s1
	;; [unrolled: 1-line block ×5, first 2 shown]
	v_alignbit_b32 v12, v4, v8, v10
	v_alignbit_b32 v9, v8, v5, v10
	;; [unrolled: 1-line block ×3, first 2 shown]
	v_cndmask_b32_e32 v1, v12, v4, vcc_lo
	v_cndmask_b32_e32 v4, v9, v8, vcc_lo
	v_cndmask_b32_e32 v5, v10, v5, vcc_lo
	v_bfe_u32 v6, v1, 29, 1
	v_alignbit_b32 v8, v1, v4, 30
	v_alignbit_b32 v4, v4, v5, 30
	;; [unrolled: 1-line block ×3, first 2 shown]
	v_sub_nc_u32_e32 v9, 0, v6
	v_xor_b32_e32 v8, v8, v9
	v_xor_b32_e32 v4, v4, v9
	;; [unrolled: 1-line block ×3, first 2 shown]
	v_lshrrev_b32_e32 v9, 29, v1
	v_ffbh_u32_e32 v10, v8
	v_min_u32_e32 v10, 32, v10
	v_sub_nc_u32_e32 v5, 31, v10
	v_lshlrev_b32_e32 v11, 23, v10
	v_alignbit_b32 v8, v8, v4, v5
	v_alignbit_b32 v3, v4, v3, v5
	v_lshlrev_b32_e32 v4, 31, v9
	v_alignbit_b32 v5, v8, v3, 9
	v_or_b32_e32 v9, 0.5, v4
	v_lshrrev_b32_e32 v8, 9, v8
	v_or_b32_e32 v4, 0x33000000, v4
	v_ffbh_u32_e32 v12, v5
	v_sub_nc_u32_e32 v9, v9, v11
	v_min_u32_e32 v11, 32, v12
	v_or_b32_e32 v8, v8, v9
	v_not_b32_e32 v9, v11
	v_mul_f32_e32 v12, 0x3fc90fda, v8
	v_add_lshl_u32 v10, v11, v10, 23
	v_alignbit_b32 v3, v5, v3, v9
	v_fma_f32 v5, 0x3fc90fda, v8, -v12
	v_sub_nc_u32_e32 v4, v4, v10
	v_lshrrev_b32_e32 v3, 9, v3
	v_fmamk_f32 v5, v8, 0x33a22168, v5
	v_or_b32_e32 v3, v4, v3
	v_fmac_f32_e32 v5, 0x3fc90fda, v3
	v_lshrrev_b32_e32 v3, 30, v1
	v_add_f32_e32 v1, v12, v5
	v_add_nc_u32_e32 v3, v6, v3
.LBB14_15:
	s_andn2_saveexec_b32 s0, s18
; %bb.16:
	v_mul_f32_e64 v1, 0x3f22f983, |v2|
	v_rndne_f32_e32 v3, v1
	v_fma_f32 v1, 0xbfc90fda, v3, |v2|
	v_fmamk_f32 v1, v3, 0xb3a22168, v1
	v_fmamk_f32 v1, v3, 0xa7c234c4, v1
	v_cvt_i32_f32_e32 v3, v3
; %bb.17:
	s_or_b32 exec_lo, exec_lo, s0
	v_mul_f32_e32 v4, v1, v1
	s_mov_b32 s0, 0xb94c1982
	s_mov_b32 s1, 0x37d75334
	v_and_b32_e32 v8, 1, v3
	v_lshlrev_b32_e32 v3, 30, v3
	v_fmaak_f32 v5, s0, v4, 0x3c0881c4
	v_fmaak_f32 v6, s1, v4, 0xbab64f3b
	v_xor_b32_e32 v0, v0, v2
	v_cmp_eq_u32_e32 vcc_lo, 0, v8
	v_and_b32_e32 v3, 0x80000000, v3
	v_fmaak_f32 v5, v4, v5, 0xbe2aaa9d
	v_fmaak_f32 v6, v4, v6, 0x3d2aabf7
	v_mul_f32_e32 v5, v4, v5
	v_fmaak_f32 v6, v4, v6, 0xbf000004
	v_fmac_f32_e32 v1, v1, v5
	v_fma_f32 v4, v4, v6, 1.0
	v_cndmask_b32_e32 v1, v4, v1, vcc_lo
	v_cmp_class_f32_e64 vcc_lo, v2, 0x1f8
	v_xor3_b32 v0, v0, v3, v1
	v_cndmask_b32_e32 v0, 0x7fc00000, v0, vcc_lo
	v_div_scale_f32 v1, null, v2, v2, v0
	v_rcp_f32_e32 v3, v1
	v_fma_f32 v4, -v1, v3, 1.0
	v_fmac_f32_e32 v3, v4, v3
	v_div_scale_f32 v4, vcc_lo, v0, v2, v0
	v_mul_f32_e32 v5, v4, v3
	v_fma_f32 v6, -v1, v5, v4
	v_fmac_f32_e32 v5, v6, v3
	v_fma_f32 v1, -v1, v5, v4
	v_div_fmas_f32 v1, v1, v3, v5
	v_div_fixup_f32 v0, v1, v2, v0
                                        ; implicit-def: $vgpr2
.LBB14_18:
	s_andn2_saveexec_b32 s0, s17
	s_cbranch_execz .LBB14_20
; %bb.19:
	v_mul_f32_e32 v0, v2, v2
	s_mov_b32 s1, 0x2f309231
	v_fmaak_f32 v1, s1, v0, 0xb2d7322b
	v_fmaak_f32 v1, v0, v1, 0x3638ef1d
	;; [unrolled: 1-line block ×5, first 2 shown]
	v_fma_f32 v0, v0, v1, 1.0
.LBB14_20:
	s_or_b32 exec_lo, exec_lo, s0
.LBB14_21:
	s_or_b32 exec_lo, exec_lo, s12
	v_mul_lo_u32 v1, v7, s2
	s_and_b32 s1, s4, 0xff
	s_cmp_lt_i32 s1, 11
	v_ashrrev_i32_e32 v3, 31, v1
	v_add_co_u32 v2, vcc_lo, s8, v1
	v_add_co_ci_u32_e64 v3, null, s9, v3, vcc_lo
	s_cbranch_scc1 .LBB14_29
; %bb.22:
	s_and_b32 s12, 0xffff, s1
	s_cmp_gt_i32 s12, 25
	s_cbranch_scc0 .LBB14_32
; %bb.23:
	s_cmp_gt_i32 s12, 28
	s_cbranch_scc0 .LBB14_34
; %bb.24:
	;; [unrolled: 3-line block ×4, first 2 shown]
	s_mov_b32 s18, 0
	s_mov_b32 s0, -1
	s_cmp_eq_u32 s12, 46
	s_mov_b32 s17, 0
	s_cbranch_scc0 .LBB14_43
; %bb.27:
	v_bfe_u32 v1, v0, 16, 1
	v_cmp_o_f32_e32 vcc_lo, v0, v0
	v_mov_b32_e32 v4, 0x7fc0
	s_mov_b32 s17, -1
	s_mov_b32 s0, 0
	v_add3_u32 v1, v0, v1, 0x7fff
	v_cndmask_b32_sdwa v1, v4, v1, vcc_lo dst_sel:DWORD dst_unused:UNUSED_PAD src0_sel:DWORD src1_sel:WORD_1
	global_store_dword v[2:3], v1, off
	s_branch .LBB14_43
.LBB14_28:
	s_mov_b32 s1, 0
                                        ; implicit-def: $vgpr2
	s_cbranch_execnz .LBB14_177
	s_branch .LBB14_211
.LBB14_29:
	s_mov_b32 s0, 0
	s_mov_b32 s17, 0
	s_cbranch_execnz .LBB14_112
.LBB14_30:
	s_andn2_b32 vcc_lo, exec_lo, s17
	s_cbranch_vccnz .LBB14_260
	s_branch .LBB14_150
.LBB14_31:
	s_mov_b32 s12, -1
	s_mov_b32 s1, 0
                                        ; implicit-def: $vgpr2
	s_branch .LBB14_158
.LBB14_32:
	s_mov_b32 s18, -1
	s_mov_b32 s0, 0
	s_mov_b32 s17, 0
	s_branch .LBB14_70
.LBB14_33:
	s_mov_b32 s12, -1
	s_mov_b32 s1, 0
                                        ; implicit-def: $vgpr2
	s_branch .LBB14_153
.LBB14_34:
	s_mov_b32 s18, -1
	s_mov_b32 s0, 0
	s_mov_b32 s17, 0
	s_branch .LBB14_53
.LBB14_35:
	s_mov_b32 s12, -1
	s_branch .LBB14_38
.LBB14_36:
	s_mov_b32 s18, -1
	s_mov_b32 s0, 0
	s_mov_b32 s17, 0
	s_branch .LBB14_49
.LBB14_37:
	s_mov_b32 s14, -1
.LBB14_38:
	s_mov_b32 s1, 0
                                        ; implicit-def: $vgpr2
.LBB14_39:
	s_and_b32 vcc_lo, exec_lo, s12
	s_cbranch_vccz .LBB14_152
; %bb.40:
	s_cmp_eq_u32 s0, 44
	s_cbranch_scc0 .LBB14_151
; %bb.41:
	global_load_ubyte v2, v[0:1], off
	s_mov_b32 s14, 0
	s_mov_b32 s1, -1
	s_waitcnt vmcnt(0)
	v_lshlrev_b32_e32 v3, 23, v2
	v_cmp_ne_u32_e32 vcc_lo, 0xff, v2
	v_cndmask_b32_e32 v3, 0x7f800001, v3, vcc_lo
	v_cmp_ne_u32_e32 vcc_lo, 0, v2
	v_cndmask_b32_e32 v2, 0x400000, v3, vcc_lo
	s_branch .LBB14_152
.LBB14_42:
	s_mov_b32 s18, -1
	s_mov_b32 s0, 0
	s_mov_b32 s17, 0
.LBB14_43:
	s_and_b32 vcc_lo, exec_lo, s18
	s_cbranch_vccz .LBB14_48
; %bb.44:
	s_cmp_eq_u32 s12, 44
	s_mov_b32 s0, -1
	s_cbranch_scc0 .LBB14_48
; %bb.45:
	v_bfe_u32 v4, v0, 23, 8
	v_mov_b32_e32 v1, 0xff
	s_mov_b32 s17, exec_lo
	v_cmpx_ne_u32_e32 0xff, v4
	s_cbranch_execz .LBB14_47
; %bb.46:
	v_and_b32_e32 v1, 0x400000, v0
	v_and_or_b32 v4, 0x3fffff, v0, v4
	v_cmp_ne_u32_e32 vcc_lo, 0, v1
	v_cmp_ne_u32_e64 s0, 0, v4
	v_lshrrev_b32_e32 v1, 23, v0
	s_and_b32 s0, vcc_lo, s0
	v_cndmask_b32_e64 v4, 0, 1, s0
	v_add_nc_u32_e32 v1, v1, v4
.LBB14_47:
	s_or_b32 exec_lo, exec_lo, s17
	s_mov_b32 s17, -1
	s_mov_b32 s0, 0
	global_store_byte v[2:3], v1, off
.LBB14_48:
	s_mov_b32 s18, 0
.LBB14_49:
	s_and_b32 vcc_lo, exec_lo, s18
	s_cbranch_vccz .LBB14_52
; %bb.50:
	s_cmp_eq_u32 s12, 29
	s_mov_b32 s0, -1
	s_cbranch_scc0 .LBB14_52
; %bb.51:
	v_trunc_f32_e32 v1, v0
	s_mov_b32 s17, -1
	s_mov_b32 s0, 0
	s_mov_b32 s18, 0
	v_mul_f32_e32 v4, 0x2f800000, v1
	v_floor_f32_e32 v4, v4
	v_fmamk_f32 v1, v4, 0xcf800000, v1
	v_cvt_u32_f32_e32 v5, v4
	v_cvt_u32_f32_e32 v4, v1
	global_store_dwordx2 v[2:3], v[4:5], off
	s_branch .LBB14_53
.LBB14_52:
	s_mov_b32 s18, 0
.LBB14_53:
	s_and_b32 vcc_lo, exec_lo, s18
	s_cbranch_vccz .LBB14_69
; %bb.54:
	s_cmp_lt_i32 s12, 27
	s_mov_b32 s17, -1
	s_cbranch_scc1 .LBB14_60
; %bb.55:
	v_cvt_u32_f32_e32 v1, v0
	s_cmp_gt_i32 s12, 27
	s_cbranch_scc0 .LBB14_57
; %bb.56:
	s_mov_b32 s17, 0
	global_store_dword v[2:3], v1, off
.LBB14_57:
	s_andn2_b32 vcc_lo, exec_lo, s17
	s_cbranch_vccnz .LBB14_59
; %bb.58:
	global_store_short v[2:3], v1, off
.LBB14_59:
	s_mov_b32 s17, 0
.LBB14_60:
	s_andn2_b32 vcc_lo, exec_lo, s17
	s_cbranch_vccnz .LBB14_68
; %bb.61:
	v_and_b32_e32 v1, 0x7fffffff, v0
	v_mov_b32_e32 v4, 0x80
	s_mov_b32 s17, exec_lo
	v_cmpx_gt_u32_e32 0x43800000, v1
	s_cbranch_execz .LBB14_67
; %bb.62:
	v_cmp_lt_u32_e32 vcc_lo, 0x3bffffff, v1
	s_mov_b32 s18, 0
                                        ; implicit-def: $vgpr1
	s_and_saveexec_b32 s19, vcc_lo
	s_xor_b32 s19, exec_lo, s19
	s_cbranch_execz .LBB14_299
; %bb.63:
	v_bfe_u32 v1, v0, 20, 1
	s_mov_b32 s18, exec_lo
	v_add3_u32 v1, v0, v1, 0x487ffff
	v_lshrrev_b32_e32 v1, 20, v1
	s_andn2_saveexec_b32 s19, s19
	s_cbranch_execnz .LBB14_300
.LBB14_64:
	s_or_b32 exec_lo, exec_lo, s19
	v_mov_b32_e32 v4, 0
	s_and_saveexec_b32 s19, s18
.LBB14_65:
	v_lshrrev_b32_e32 v4, 24, v0
	v_and_or_b32 v4, 0x80, v4, v1
.LBB14_66:
	s_or_b32 exec_lo, exec_lo, s19
.LBB14_67:
	s_or_b32 exec_lo, exec_lo, s17
	global_store_byte v[2:3], v4, off
.LBB14_68:
	s_mov_b32 s17, -1
.LBB14_69:
	s_mov_b32 s18, 0
.LBB14_70:
	s_and_b32 vcc_lo, exec_lo, s18
	s_cbranch_vccz .LBB14_111
; %bb.71:
	s_cmp_gt_i32 s12, 22
	s_mov_b32 s18, -1
	s_cbranch_scc0 .LBB14_103
; %bb.72:
	s_cmp_lt_i32 s12, 24
	s_mov_b32 s17, -1
	s_cbranch_scc1 .LBB14_92
; %bb.73:
	s_cmp_gt_i32 s12, 24
	s_cbranch_scc0 .LBB14_81
; %bb.74:
	v_and_b32_e32 v1, 0x7fffffff, v0
	v_mov_b32_e32 v4, 0x80
	s_mov_b32 s17, exec_lo
	v_cmpx_gt_u32_e32 0x47800000, v1
	s_cbranch_execz .LBB14_80
; %bb.75:
	v_cmp_lt_u32_e32 vcc_lo, 0x37ffffff, v1
	s_mov_b32 s18, 0
                                        ; implicit-def: $vgpr1
	s_and_saveexec_b32 s19, vcc_lo
	s_xor_b32 s19, exec_lo, s19
	s_cbranch_execz .LBB14_303
; %bb.76:
	v_bfe_u32 v1, v0, 21, 1
	s_mov_b32 s18, exec_lo
	v_add3_u32 v1, v0, v1, 0x88fffff
	v_lshrrev_b32_e32 v1, 21, v1
	s_andn2_saveexec_b32 s19, s19
	s_cbranch_execnz .LBB14_304
.LBB14_77:
	s_or_b32 exec_lo, exec_lo, s19
	v_mov_b32_e32 v4, 0
	s_and_saveexec_b32 s19, s18
.LBB14_78:
	v_lshrrev_b32_e32 v4, 24, v0
	v_and_or_b32 v4, 0x80, v4, v1
.LBB14_79:
	s_or_b32 exec_lo, exec_lo, s19
.LBB14_80:
	s_or_b32 exec_lo, exec_lo, s17
	s_mov_b32 s17, 0
	global_store_byte v[2:3], v4, off
.LBB14_81:
	s_and_b32 vcc_lo, exec_lo, s17
	s_cbranch_vccz .LBB14_91
; %bb.82:
	v_and_b32_e32 v4, 0x7fffffff, v0
	s_mov_b32 s17, exec_lo
                                        ; implicit-def: $vgpr1
	v_cmpx_gt_u32_e32 0x43f00000, v4
	s_xor_b32 s17, exec_lo, s17
	s_cbranch_execz .LBB14_88
; %bb.83:
	s_mov_b32 s18, exec_lo
                                        ; implicit-def: $vgpr1
	v_cmpx_lt_u32_e32 0x3c7fffff, v4
	s_xor_b32 s18, exec_lo, s18
; %bb.84:
	v_bfe_u32 v1, v0, 20, 1
	v_add3_u32 v1, v0, v1, 0x407ffff
	v_and_b32_e32 v4, 0xff00000, v1
	v_lshrrev_b32_e32 v1, 20, v1
	v_cmp_ne_u32_e32 vcc_lo, 0x7f00000, v4
	v_cndmask_b32_e32 v1, 0x7e, v1, vcc_lo
; %bb.85:
	s_andn2_saveexec_b32 s18, s18
; %bb.86:
	v_add_f32_e64 v1, 0x46800000, |v0|
; %bb.87:
	s_or_b32 exec_lo, exec_lo, s18
                                        ; implicit-def: $vgpr4
.LBB14_88:
	s_andn2_saveexec_b32 s17, s17
; %bb.89:
	v_mov_b32_e32 v1, 0x7f
	v_cmp_lt_u32_e32 vcc_lo, 0x7f800000, v4
	v_cndmask_b32_e32 v1, 0x7e, v1, vcc_lo
; %bb.90:
	s_or_b32 exec_lo, exec_lo, s17
	v_lshrrev_b32_e32 v4, 24, v0
	v_and_or_b32 v1, 0x80, v4, v1
	global_store_byte v[2:3], v1, off
.LBB14_91:
	s_mov_b32 s17, 0
.LBB14_92:
	s_andn2_b32 vcc_lo, exec_lo, s17
	s_cbranch_vccnz .LBB14_102
; %bb.93:
	v_and_b32_e32 v4, 0x7fffffff, v0
	s_mov_b32 s17, exec_lo
                                        ; implicit-def: $vgpr1
	v_cmpx_gt_u32_e32 0x47800000, v4
	s_xor_b32 s17, exec_lo, s17
	s_cbranch_execz .LBB14_99
; %bb.94:
	s_mov_b32 s18, exec_lo
                                        ; implicit-def: $vgpr1
	v_cmpx_lt_u32_e32 0x387fffff, v4
	s_xor_b32 s18, exec_lo, s18
; %bb.95:
	v_bfe_u32 v1, v0, 21, 1
	v_add3_u32 v1, v0, v1, 0x80fffff
	v_lshrrev_b32_e32 v1, 21, v1
; %bb.96:
	s_andn2_saveexec_b32 s18, s18
; %bb.97:
	v_add_f32_e64 v1, 0x43000000, |v0|
; %bb.98:
	s_or_b32 exec_lo, exec_lo, s18
                                        ; implicit-def: $vgpr4
.LBB14_99:
	s_andn2_saveexec_b32 s17, s17
; %bb.100:
	v_mov_b32_e32 v1, 0x7f
	v_cmp_lt_u32_e32 vcc_lo, 0x7f800000, v4
	v_cndmask_b32_e32 v1, 0x7c, v1, vcc_lo
; %bb.101:
	s_or_b32 exec_lo, exec_lo, s17
	v_lshrrev_b32_e32 v4, 24, v0
	v_and_or_b32 v1, 0x80, v4, v1
	global_store_byte v[2:3], v1, off
.LBB14_102:
	s_mov_b32 s18, 0
	s_mov_b32 s17, -1
.LBB14_103:
	s_andn2_b32 vcc_lo, exec_lo, s18
	s_cbranch_vccnz .LBB14_111
; %bb.104:
	s_cmp_gt_i32 s12, 14
	s_mov_b32 s18, -1
	s_cbranch_scc0 .LBB14_108
; %bb.105:
	s_cmp_eq_u32 s12, 15
	s_mov_b32 s0, -1
	s_cbranch_scc0 .LBB14_107
; %bb.106:
	v_bfe_u32 v1, v0, 16, 1
	v_cmp_o_f32_e32 vcc_lo, v0, v0
	v_mov_b32_e32 v4, 0x7fc0
	s_mov_b32 s17, -1
	s_mov_b32 s0, 0
	v_add3_u32 v1, v0, v1, 0x7fff
	v_cndmask_b32_sdwa v1, v4, v1, vcc_lo dst_sel:DWORD dst_unused:UNUSED_PAD src0_sel:DWORD src1_sel:WORD_1
	global_store_short v[2:3], v1, off
.LBB14_107:
	s_mov_b32 s18, 0
.LBB14_108:
	s_and_b32 vcc_lo, exec_lo, s18
	s_cbranch_vccz .LBB14_111
; %bb.109:
	s_cmp_eq_u32 s12, 11
	s_mov_b32 s0, -1
	s_cbranch_scc0 .LBB14_111
; %bb.110:
	v_cmp_neq_f32_e32 vcc_lo, 0, v0
	s_mov_b32 s0, 0
	s_mov_b32 s17, -1
	v_cndmask_b32_e64 v1, 0, 1, vcc_lo
	global_store_byte v[2:3], v1, off
.LBB14_111:
	s_branch .LBB14_30
.LBB14_112:
	s_and_b32 s1, 0xffff, s1
	s_mov_b32 s12, -1
	s_cmp_lt_i32 s1, 5
	s_cbranch_scc1 .LBB14_133
; %bb.113:
	s_cmp_lt_i32 s1, 8
	s_cbranch_scc1 .LBB14_123
; %bb.114:
	;; [unrolled: 3-line block ×3, first 2 shown]
	s_cmp_gt_i32 s1, 9
	s_cbranch_scc0 .LBB14_117
; %bb.116:
	v_cvt_f64_f32_e32 v[8:9], v0
	v_mov_b32_e32 v10, 0
	s_mov_b32 s12, 0
	v_mov_b32_e32 v11, v10
	global_store_dwordx4 v[2:3], v[8:11], off
.LBB14_117:
	s_andn2_b32 vcc_lo, exec_lo, s12
	s_cbranch_vccnz .LBB14_119
; %bb.118:
	v_mov_b32_e32 v1, 0
	global_store_dwordx2 v[2:3], v[0:1], off
.LBB14_119:
	s_mov_b32 s12, 0
.LBB14_120:
	s_andn2_b32 vcc_lo, exec_lo, s12
	s_cbranch_vccnz .LBB14_122
; %bb.121:
	v_cvt_f16_f32_e32 v1, v0
	v_and_b32_e32 v1, 0xffff, v1
	global_store_dword v[2:3], v1, off
.LBB14_122:
	s_mov_b32 s12, 0
.LBB14_123:
	s_andn2_b32 vcc_lo, exec_lo, s12
	s_cbranch_vccnz .LBB14_132
; %bb.124:
	s_cmp_lt_i32 s1, 6
	s_mov_b32 s12, -1
	s_cbranch_scc1 .LBB14_130
; %bb.125:
	s_cmp_gt_i32 s1, 6
	s_cbranch_scc0 .LBB14_127
; %bb.126:
	v_cvt_f64_f32_e32 v[4:5], v0
	s_mov_b32 s12, 0
	global_store_dwordx2 v[2:3], v[4:5], off
.LBB14_127:
	s_andn2_b32 vcc_lo, exec_lo, s12
	s_cbranch_vccnz .LBB14_129
; %bb.128:
	global_store_dword v[2:3], v0, off
.LBB14_129:
	s_mov_b32 s12, 0
.LBB14_130:
	s_andn2_b32 vcc_lo, exec_lo, s12
	s_cbranch_vccnz .LBB14_132
; %bb.131:
	v_cvt_f16_f32_e32 v1, v0
	global_store_short v[2:3], v1, off
.LBB14_132:
	s_mov_b32 s12, 0
.LBB14_133:
	s_andn2_b32 vcc_lo, exec_lo, s12
	s_cbranch_vccnz .LBB14_149
; %bb.134:
	s_cmp_lt_i32 s1, 2
	s_mov_b32 s12, -1
	s_cbranch_scc1 .LBB14_144
; %bb.135:
	s_cmp_lt_i32 s1, 3
	s_cbranch_scc1 .LBB14_141
; %bb.136:
	s_cmp_gt_i32 s1, 3
	s_cbranch_scc0 .LBB14_138
; %bb.137:
	v_trunc_f32_e32 v1, v0
	s_mov_b32 s12, 0
	v_mul_f32_e64 v4, 0x2f800000, |v1|
	v_floor_f32_e32 v4, v4
	v_fma_f32 v5, 0xcf800000, v4, |v1|
	v_ashrrev_i32_e32 v1, 31, v1
	v_cvt_u32_f32_e32 v4, v4
	v_cvt_u32_f32_e32 v5, v5
	v_xor_b32_e32 v6, v4, v1
	v_xor_b32_e32 v5, v5, v1
	v_sub_co_u32 v4, vcc_lo, v5, v1
	v_sub_co_ci_u32_e64 v5, null, v6, v1, vcc_lo
	global_store_dwordx2 v[2:3], v[4:5], off
.LBB14_138:
	s_andn2_b32 vcc_lo, exec_lo, s12
	s_cbranch_vccnz .LBB14_140
; %bb.139:
	v_cvt_i32_f32_e32 v1, v0
	global_store_dword v[2:3], v1, off
.LBB14_140:
	s_mov_b32 s12, 0
.LBB14_141:
	s_andn2_b32 vcc_lo, exec_lo, s12
	s_cbranch_vccnz .LBB14_143
; %bb.142:
	v_cvt_i32_f32_e32 v1, v0
	global_store_short v[2:3], v1, off
.LBB14_143:
	s_mov_b32 s12, 0
.LBB14_144:
	s_andn2_b32 vcc_lo, exec_lo, s12
	s_cbranch_vccnz .LBB14_149
; %bb.145:
	s_cmp_gt_i32 s1, 0
	s_mov_b32 s1, -1
	s_cbranch_scc0 .LBB14_147
; %bb.146:
	v_cvt_i32_f32_e32 v1, v0
	s_mov_b32 s1, 0
	global_store_byte v[2:3], v1, off
.LBB14_147:
	s_andn2_b32 vcc_lo, exec_lo, s1
	s_cbranch_vccnz .LBB14_149
; %bb.148:
	v_trunc_f32_e32 v0, v0
	v_mul_f32_e64 v1, 0x2f800000, |v0|
	v_floor_f32_e32 v1, v1
	v_fma_f32 v1, 0xcf800000, v1, |v0|
	v_ashrrev_i32_e32 v0, 31, v0
	v_cvt_u32_f32_e32 v1, v1
	v_xor_b32_e32 v1, v1, v0
	v_sub_nc_u32_e32 v0, v1, v0
	global_store_byte v[2:3], v0, off
.LBB14_149:
.LBB14_150:
	v_add_nc_u32_e32 v7, 0x80, v7
	s_mov_b32 s1, -1
	s_branch .LBB14_261
.LBB14_151:
	s_mov_b32 s14, -1
                                        ; implicit-def: $vgpr2
.LBB14_152:
	s_mov_b32 s12, 0
.LBB14_153:
	s_and_b32 vcc_lo, exec_lo, s12
	s_cbranch_vccz .LBB14_157
; %bb.154:
	s_cmp_eq_u32 s0, 29
	s_cbranch_scc0 .LBB14_156
; %bb.155:
	global_load_dwordx2 v[2:3], v[0:1], off
	s_mov_b32 s1, -1
	s_mov_b32 s14, 0
	s_mov_b32 s12, 0
	s_waitcnt vmcnt(0)
	v_ffbh_u32_e32 v4, v3
	v_min_u32_e32 v4, 32, v4
	v_lshlrev_b64 v[2:3], v4, v[2:3]
	v_min_u32_e32 v2, 1, v2
	v_or_b32_e32 v2, v3, v2
	v_sub_nc_u32_e32 v3, 32, v4
	v_cvt_f32_u32_e32 v2, v2
	v_ldexp_f32 v2, v2, v3
	s_branch .LBB14_158
.LBB14_156:
	s_mov_b32 s14, -1
                                        ; implicit-def: $vgpr2
.LBB14_157:
	s_mov_b32 s12, 0
.LBB14_158:
	s_and_b32 vcc_lo, exec_lo, s12
	s_cbranch_vccz .LBB14_176
; %bb.159:
	s_cmp_lt_i32 s0, 27
	s_cbranch_scc1 .LBB14_162
; %bb.160:
	s_cmp_gt_i32 s0, 27
	s_cbranch_scc0 .LBB14_163
; %bb.161:
	global_load_dword v2, v[0:1], off
	s_mov_b32 s1, 0
	s_waitcnt vmcnt(0)
	v_cvt_f32_u32_e32 v2, v2
	s_branch .LBB14_164
.LBB14_162:
	s_mov_b32 s1, -1
                                        ; implicit-def: $vgpr2
	s_branch .LBB14_167
.LBB14_163:
	s_mov_b32 s1, -1
                                        ; implicit-def: $vgpr2
.LBB14_164:
	s_andn2_b32 vcc_lo, exec_lo, s1
	s_cbranch_vccnz .LBB14_166
; %bb.165:
	global_load_ushort v2, v[0:1], off
	s_waitcnt vmcnt(0)
	v_cvt_f32_u32_e32 v2, v2
.LBB14_166:
	s_mov_b32 s1, 0
.LBB14_167:
	s_andn2_b32 vcc_lo, exec_lo, s1
	s_cbranch_vccnz .LBB14_175
; %bb.168:
	global_load_ubyte v3, v[0:1], off
	s_mov_b32 s1, 0
	s_mov_b32 s12, exec_lo
	s_waitcnt vmcnt(0)
	v_cmpx_lt_i16_e32 0x7f, v3
	s_xor_b32 s12, exec_lo, s12
	s_cbranch_execz .LBB14_188
; %bb.169:
	s_mov_b32 s1, -1
	s_mov_b32 s17, exec_lo
	v_cmpx_eq_u16_e32 0x80, v3
; %bb.170:
	s_xor_b32 s1, exec_lo, -1
; %bb.171:
	s_or_b32 exec_lo, exec_lo, s17
	s_and_b32 s1, s1, exec_lo
	s_or_saveexec_b32 s12, s12
	v_mov_b32_e32 v2, 0x7f800001
	s_xor_b32 exec_lo, exec_lo, s12
	s_cbranch_execnz .LBB14_189
.LBB14_172:
	s_or_b32 exec_lo, exec_lo, s12
	s_and_saveexec_b32 s12, s1
	s_cbranch_execz .LBB14_174
.LBB14_173:
	v_and_b32_e32 v2, 0xffff, v3
	v_lshlrev_b32_e32 v3, 24, v3
	v_and_b32_e32 v4, 7, v2
	v_bfe_u32 v8, v2, 3, 4
	v_and_b32_e32 v3, 0x80000000, v3
	v_ffbh_u32_e32 v5, v4
	v_cmp_eq_u32_e32 vcc_lo, 0, v8
	v_min_u32_e32 v5, 32, v5
	v_subrev_nc_u32_e32 v6, 28, v5
	v_sub_nc_u32_e32 v5, 29, v5
	v_lshlrev_b32_e32 v2, v6, v2
	v_cndmask_b32_e32 v5, v8, v5, vcc_lo
	v_and_b32_e32 v2, 7, v2
	v_cndmask_b32_e32 v2, v4, v2, vcc_lo
	v_lshl_add_u32 v4, v5, 23, 0x3b800000
	v_lshlrev_b32_e32 v2, 20, v2
	v_or3_b32 v2, v3, v4, v2
.LBB14_174:
	s_or_b32 exec_lo, exec_lo, s12
.LBB14_175:
	s_mov_b32 s1, -1
.LBB14_176:
	s_branch .LBB14_211
.LBB14_177:
	s_cmp_gt_i32 s0, 22
	s_cbranch_scc0 .LBB14_187
; %bb.178:
	s_cmp_lt_i32 s0, 24
	s_cbranch_scc1 .LBB14_190
; %bb.179:
	s_cmp_gt_i32 s0, 24
	s_cbranch_scc0 .LBB14_191
; %bb.180:
	global_load_ubyte v3, v[0:1], off
	s_mov_b32 s1, 0
	s_mov_b32 s12, exec_lo
	s_waitcnt vmcnt(0)
	v_cmpx_lt_i16_e32 0x7f, v3
	s_xor_b32 s12, exec_lo, s12
	s_cbranch_execz .LBB14_203
; %bb.181:
	s_mov_b32 s1, -1
	s_mov_b32 s17, exec_lo
	v_cmpx_eq_u16_e32 0x80, v3
; %bb.182:
	s_xor_b32 s1, exec_lo, -1
; %bb.183:
	s_or_b32 exec_lo, exec_lo, s17
	s_and_b32 s1, s1, exec_lo
	s_or_saveexec_b32 s12, s12
	v_mov_b32_e32 v2, 0x7f800001
	s_xor_b32 exec_lo, exec_lo, s12
	s_cbranch_execnz .LBB14_204
.LBB14_184:
	s_or_b32 exec_lo, exec_lo, s12
	s_and_saveexec_b32 s12, s1
	s_cbranch_execz .LBB14_186
.LBB14_185:
	v_and_b32_e32 v2, 0xffff, v3
	v_lshlrev_b32_e32 v3, 24, v3
	v_and_b32_e32 v4, 3, v2
	v_bfe_u32 v8, v2, 2, 5
	v_and_b32_e32 v3, 0x80000000, v3
	v_ffbh_u32_e32 v5, v4
	v_cmp_eq_u32_e32 vcc_lo, 0, v8
	v_min_u32_e32 v5, 32, v5
	v_subrev_nc_u32_e32 v6, 29, v5
	v_sub_nc_u32_e32 v5, 30, v5
	v_lshlrev_b32_e32 v2, v6, v2
	v_cndmask_b32_e32 v5, v8, v5, vcc_lo
	v_and_b32_e32 v2, 3, v2
	v_cndmask_b32_e32 v2, v4, v2, vcc_lo
	v_lshl_add_u32 v4, v5, 23, 0x37800000
	v_lshlrev_b32_e32 v2, 21, v2
	v_or3_b32 v2, v3, v4, v2
.LBB14_186:
	s_or_b32 exec_lo, exec_lo, s12
	s_mov_b32 s1, 0
	s_branch .LBB14_192
.LBB14_187:
	s_mov_b32 s12, -1
                                        ; implicit-def: $vgpr2
	s_branch .LBB14_198
.LBB14_188:
	s_or_saveexec_b32 s12, s12
	v_mov_b32_e32 v2, 0x7f800001
	s_xor_b32 exec_lo, exec_lo, s12
	s_cbranch_execz .LBB14_172
.LBB14_189:
	v_cmp_ne_u16_e32 vcc_lo, 0, v3
	v_mov_b32_e32 v2, 0
	s_andn2_b32 s1, s1, exec_lo
	s_and_b32 s17, vcc_lo, exec_lo
	s_or_b32 s1, s1, s17
	s_or_b32 exec_lo, exec_lo, s12
	s_and_saveexec_b32 s12, s1
	s_cbranch_execnz .LBB14_173
	s_branch .LBB14_174
.LBB14_190:
	s_mov_b32 s1, -1
                                        ; implicit-def: $vgpr2
	s_branch .LBB14_195
.LBB14_191:
	s_mov_b32 s1, -1
                                        ; implicit-def: $vgpr2
.LBB14_192:
	s_and_b32 vcc_lo, exec_lo, s1
	s_cbranch_vccz .LBB14_194
; %bb.193:
	global_load_ubyte v2, v[0:1], off
	s_waitcnt vmcnt(0)
	v_lshlrev_b32_e32 v2, 24, v2
	v_and_b32_e32 v3, 0x7f000000, v2
	v_ffbh_u32_e32 v4, v3
	v_add_nc_u32_e32 v6, 0x1000000, v3
	v_cmp_ne_u32_e32 vcc_lo, 0, v3
	v_min_u32_e32 v4, 32, v4
	v_sub_nc_u32_e64 v4, v4, 4 clamp
	v_lshlrev_b32_e32 v5, v4, v3
	v_lshlrev_b32_e32 v4, 23, v4
	v_lshrrev_b32_e32 v5, 4, v5
	v_sub_nc_u32_e32 v4, v5, v4
	v_ashrrev_i32_e32 v5, 8, v6
	v_add_nc_u32_e32 v4, 0x3c000000, v4
	v_and_or_b32 v4, 0x7f800000, v5, v4
	v_cndmask_b32_e32 v3, 0, v4, vcc_lo
	v_and_or_b32 v2, 0x80000000, v2, v3
.LBB14_194:
	s_mov_b32 s1, 0
.LBB14_195:
	s_andn2_b32 vcc_lo, exec_lo, s1
	s_cbranch_vccnz .LBB14_197
; %bb.196:
	global_load_ubyte v2, v[0:1], off
	s_waitcnt vmcnt(0)
	v_lshlrev_b32_e32 v3, 25, v2
	v_lshlrev_b16 v2, 8, v2
	v_lshrrev_b32_e32 v4, 4, v3
	v_and_or_b32 v5, 0x7f00, v2, 0.5
	v_cmp_gt_u32_e32 vcc_lo, 0x8000000, v3
	v_bfe_i32 v2, v2, 0, 16
	v_or_b32_e32 v4, 0x70000000, v4
	v_add_f32_e32 v5, -0.5, v5
	v_mul_f32_e32 v4, 0x7800000, v4
	v_cndmask_b32_e32 v3, v4, v5, vcc_lo
	v_and_or_b32 v2, 0x80000000, v2, v3
.LBB14_197:
	s_mov_b32 s12, 0
	s_mov_b32 s1, -1
.LBB14_198:
	s_andn2_b32 vcc_lo, exec_lo, s12
	s_cbranch_vccnz .LBB14_211
; %bb.199:
	s_cmp_gt_i32 s0, 14
	s_cbranch_scc0 .LBB14_202
; %bb.200:
	s_cmp_eq_u32 s0, 15
	s_cbranch_scc0 .LBB14_205
; %bb.201:
	global_load_ushort v2, v[0:1], off
	s_mov_b32 s1, -1
	s_mov_b32 s14, 0
	s_waitcnt vmcnt(0)
	v_lshlrev_b32_e32 v2, 16, v2
	s_branch .LBB14_206
.LBB14_202:
	s_mov_b32 s12, -1
                                        ; implicit-def: $vgpr2
	s_branch .LBB14_207
.LBB14_203:
	s_or_saveexec_b32 s12, s12
	v_mov_b32_e32 v2, 0x7f800001
	s_xor_b32 exec_lo, exec_lo, s12
	s_cbranch_execz .LBB14_184
.LBB14_204:
	v_cmp_ne_u16_e32 vcc_lo, 0, v3
	v_mov_b32_e32 v2, 0
	s_andn2_b32 s1, s1, exec_lo
	s_and_b32 s17, vcc_lo, exec_lo
	s_or_b32 s1, s1, s17
	s_or_b32 exec_lo, exec_lo, s12
	s_and_saveexec_b32 s12, s1
	s_cbranch_execnz .LBB14_185
	s_branch .LBB14_186
.LBB14_205:
	s_mov_b32 s14, -1
                                        ; implicit-def: $vgpr2
.LBB14_206:
	s_mov_b32 s12, 0
.LBB14_207:
	s_and_b32 vcc_lo, exec_lo, s12
	s_cbranch_vccz .LBB14_211
; %bb.208:
	s_cmp_eq_u32 s0, 11
	s_cbranch_scc0 .LBB14_210
; %bb.209:
	global_load_ubyte v2, v[0:1], off
	s_mov_b32 s14, 0
	s_mov_b32 s1, -1
	s_waitcnt vmcnt(0)
	v_cmp_ne_u16_e32 vcc_lo, 0, v2
	v_cndmask_b32_e64 v2, 0, 1.0, vcc_lo
	s_branch .LBB14_211
.LBB14_210:
	s_mov_b32 s14, -1
                                        ; implicit-def: $vgpr2
.LBB14_211:
	s_branch .LBB14_10
.LBB14_212:
	s_cmp_lt_i32 s0, 5
	s_cbranch_scc1 .LBB14_217
; %bb.213:
	s_cmp_lt_i32 s0, 8
	s_cbranch_scc1 .LBB14_218
; %bb.214:
	;; [unrolled: 3-line block ×3, first 2 shown]
	s_cmp_gt_i32 s0, 9
	s_cbranch_scc0 .LBB14_220
; %bb.216:
	global_load_dwordx2 v[2:3], v[0:1], off
	s_mov_b32 s1, 0
	s_waitcnt vmcnt(0)
	v_cvt_f32_f64_e32 v2, v[2:3]
	s_branch .LBB14_221
.LBB14_217:
                                        ; implicit-def: $vgpr2
	s_branch .LBB14_239
.LBB14_218:
	s_mov_b32 s1, -1
                                        ; implicit-def: $vgpr2
	s_branch .LBB14_227
.LBB14_219:
	s_mov_b32 s1, -1
                                        ; implicit-def: $vgpr2
	s_branch .LBB14_224
.LBB14_220:
	s_mov_b32 s1, -1
                                        ; implicit-def: $vgpr2
.LBB14_221:
	s_andn2_b32 vcc_lo, exec_lo, s1
	s_cbranch_vccnz .LBB14_223
; %bb.222:
	global_load_dword v2, v[0:1], off
.LBB14_223:
	s_mov_b32 s1, 0
.LBB14_224:
	s_andn2_b32 vcc_lo, exec_lo, s1
	s_cbranch_vccnz .LBB14_226
; %bb.225:
	global_load_dword v2, v[0:1], off
	s_waitcnt vmcnt(0)
	v_cvt_f32_f16_e32 v2, v2
.LBB14_226:
	s_mov_b32 s1, 0
.LBB14_227:
	s_andn2_b32 vcc_lo, exec_lo, s1
	s_cbranch_vccnz .LBB14_238
; %bb.228:
	s_cmp_lt_i32 s0, 6
	s_cbranch_scc1 .LBB14_231
; %bb.229:
	s_cmp_gt_i32 s0, 6
	s_cbranch_scc0 .LBB14_232
; %bb.230:
	global_load_dwordx2 v[2:3], v[0:1], off
	s_mov_b32 s1, 0
	s_waitcnt vmcnt(0)
	v_cvt_f32_f64_e32 v2, v[2:3]
	s_branch .LBB14_233
.LBB14_231:
	s_mov_b32 s1, -1
                                        ; implicit-def: $vgpr2
	s_branch .LBB14_236
.LBB14_232:
	s_mov_b32 s1, -1
                                        ; implicit-def: $vgpr2
.LBB14_233:
	s_andn2_b32 vcc_lo, exec_lo, s1
	s_cbranch_vccnz .LBB14_235
; %bb.234:
	global_load_dword v2, v[0:1], off
.LBB14_235:
	s_mov_b32 s1, 0
.LBB14_236:
	s_andn2_b32 vcc_lo, exec_lo, s1
	s_cbranch_vccnz .LBB14_238
; %bb.237:
	global_load_ushort v2, v[0:1], off
	s_waitcnt vmcnt(0)
	v_cvt_f32_f16_e32 v2, v2
.LBB14_238:
	s_cbranch_execnz .LBB14_258
.LBB14_239:
	s_cmp_lt_i32 s0, 2
	s_cbranch_scc1 .LBB14_243
; %bb.240:
	s_cmp_lt_i32 s0, 3
	s_cbranch_scc1 .LBB14_244
; %bb.241:
	s_cmp_gt_i32 s0, 3
	s_cbranch_scc0 .LBB14_245
; %bb.242:
	global_load_dwordx2 v[2:3], v[0:1], off
	s_mov_b32 s1, 0
	s_waitcnt vmcnt(0)
	v_xor_b32_e32 v4, v2, v3
	v_ffbh_i32_e32 v5, v3
	v_ashrrev_i32_e32 v4, 31, v4
	v_add_nc_u32_e32 v5, -1, v5
	v_add_nc_u32_e32 v4, 32, v4
	v_min_u32_e32 v4, v5, v4
	v_lshlrev_b64 v[2:3], v4, v[2:3]
	v_min_u32_e32 v2, 1, v2
	v_or_b32_e32 v2, v3, v2
	v_sub_nc_u32_e32 v3, 32, v4
	v_cvt_f32_i32_e32 v2, v2
	v_ldexp_f32 v2, v2, v3
	s_branch .LBB14_246
.LBB14_243:
	s_mov_b32 s1, -1
                                        ; implicit-def: $vgpr2
	s_branch .LBB14_252
.LBB14_244:
	s_mov_b32 s1, -1
                                        ; implicit-def: $vgpr2
	s_branch .LBB14_249
.LBB14_245:
	s_mov_b32 s1, -1
                                        ; implicit-def: $vgpr2
.LBB14_246:
	s_andn2_b32 vcc_lo, exec_lo, s1
	s_cbranch_vccnz .LBB14_248
; %bb.247:
	global_load_dword v2, v[0:1], off
	s_waitcnt vmcnt(0)
	v_cvt_f32_i32_e32 v2, v2
.LBB14_248:
	s_mov_b32 s1, 0
.LBB14_249:
	s_andn2_b32 vcc_lo, exec_lo, s1
	s_cbranch_vccnz .LBB14_251
; %bb.250:
	global_load_sshort v2, v[0:1], off
	s_waitcnt vmcnt(0)
	v_cvt_f32_i32_e32 v2, v2
.LBB14_251:
	s_mov_b32 s1, 0
.LBB14_252:
	s_andn2_b32 vcc_lo, exec_lo, s1
	s_cbranch_vccnz .LBB14_258
; %bb.253:
	s_cmp_gt_i32 s0, 0
	s_mov_b32 s0, 0
	s_cbranch_scc0 .LBB14_255
; %bb.254:
	global_load_sbyte v2, v[0:1], off
	s_waitcnt vmcnt(0)
	v_cvt_f32_i32_e32 v2, v2
	s_branch .LBB14_256
.LBB14_255:
	s_mov_b32 s0, -1
                                        ; implicit-def: $vgpr2
.LBB14_256:
	s_andn2_b32 vcc_lo, exec_lo, s0
	s_cbranch_vccnz .LBB14_258
; %bb.257:
	global_load_ubyte v0, v[0:1], off
	s_waitcnt vmcnt(0)
	v_cvt_f32_ubyte0_e32 v2, v0
.LBB14_258:
	s_branch .LBB14_11
.LBB14_259:
	s_mov_b32 s0, 0
.LBB14_260:
	s_mov_b32 s1, 0
                                        ; implicit-def: $vgpr7
.LBB14_261:
	s_and_b32 s12, s0, exec_lo
	s_and_b32 s14, s14, exec_lo
	s_orn2_b32 s1, s1, exec_lo
.LBB14_262:
	s_or_b32 exec_lo, exec_lo, s15
	s_mov_b32 s17, 0
	s_mov_b32 s0, 0
                                        ; implicit-def: $vgpr0_vgpr1
                                        ; implicit-def: $vgpr4
	s_and_saveexec_b32 s15, s1
	s_cbranch_execz .LBB14_271
; %bb.263:
	s_mov_b32 s0, -1
	s_mov_b32 s16, s14
	s_mov_b32 s17, s12
	s_mov_b32 s18, exec_lo
	v_cmpx_gt_i32_e64 s13, v7
	s_cbranch_execz .LBB14_535
; %bb.264:
	v_mul_lo_u32 v0, v7, s3
	s_and_b32 s0, 0xffff, s6
	s_cmp_lt_i32 s0, 11
	v_ashrrev_i32_e32 v1, 31, v0
	v_add_co_u32 v0, vcc_lo, s10, v0
	v_add_co_ci_u32_e64 v1, null, s11, v1, vcc_lo
	s_cbranch_scc1 .LBB14_274
; %bb.265:
	s_cmp_gt_i32 s0, 25
	s_cbranch_scc0 .LBB14_293
; %bb.266:
	s_cmp_gt_i32 s0, 28
	s_cbranch_scc0 .LBB14_295
	;; [unrolled: 3-line block ×4, first 2 shown]
; %bb.269:
	s_cmp_eq_u32 s0, 46
	s_mov_b32 s17, 0
	s_cbranch_scc0 .LBB14_305
; %bb.270:
	global_load_dword v2, v[0:1], off
	s_mov_b32 s1, -1
	s_mov_b32 s16, 0
	s_waitcnt vmcnt(0)
	v_lshlrev_b32_e32 v2, 16, v2
	s_branch .LBB14_307
.LBB14_271:
	s_or_b32 exec_lo, exec_lo, s15
	s_mov_b32 s13, 0
	s_and_saveexec_b32 s1, s14
	s_cbranch_execnz .LBB14_893
.LBB14_272:
	s_or_b32 exec_lo, exec_lo, s1
	s_and_saveexec_b32 s1, s16
	s_xor_b32 s1, exec_lo, s1
	s_cbranch_execz .LBB14_894
.LBB14_273:
	global_load_ubyte v2, v[0:1], off
	s_or_b32 s0, s0, exec_lo
	s_waitcnt vmcnt(0)
	v_cmp_ne_u16_e32 vcc_lo, 0, v2
	v_cndmask_b32_e64 v4, 0, 1.0, vcc_lo
	s_or_b32 exec_lo, exec_lo, s1
	s_and_saveexec_b32 s1, s17
	s_cbranch_execz .LBB14_940
	s_branch .LBB14_895
.LBB14_274:
	s_mov_b32 s1, 0
	s_mov_b32 s16, s14
                                        ; implicit-def: $vgpr2
	s_cbranch_execnz .LBB14_484
.LBB14_275:
	s_andn2_b32 vcc_lo, exec_lo, s1
	s_cbranch_vccnz .LBB14_532
.LBB14_276:
	v_mov_b32_e32 v0, 0
	s_mov_b32 s17, exec_lo
	s_waitcnt vmcnt(0)
	v_cmpx_neq_f32_e64 0x7f800000, |v2|
	s_cbranch_execz .LBB14_286
; %bb.277:
                                        ; implicit-def: $vgpr0
	s_mov_b32 s1, exec_lo
	v_cmpx_nlt_f32_e64 |v2|, 0.5
	s_xor_b32 s19, exec_lo, s1
	s_cbranch_execz .LBB14_283
; %bb.278:
	v_and_b32_e32 v0, 0x7fffffff, v2
                                        ; implicit-def: $vgpr3
                                        ; implicit-def: $vgpr1
	s_mov_b32 s1, exec_lo
	v_cmpx_ngt_f32_e64 0x48000000, |v2|
	s_xor_b32 s20, exec_lo, s1
	s_cbranch_execz .LBB14_280
; %bb.279:
	s_mov_b32 s0, 0x7fffff
	v_mov_b32_e32 v5, 0
	v_and_or_b32 v1, v0, s0, 0x800000
	v_lshrrev_b32_e32 v6, 23, v0
	v_mad_u64_u32 v[3:4], null, 0xfe5163ab, v1, 0
	v_add_nc_u32_e32 v6, 0xffffff88, v6
	v_cmp_lt_u32_e32 vcc_lo, 63, v6
	v_mad_u64_u32 v[8:9], null, 0x3c439041, v1, v[4:5]
	v_cndmask_b32_e64 v13, 0, 0xffffffc0, vcc_lo
	v_mov_b32_e32 v4, v9
	v_add_nc_u32_e32 v6, v13, v6
	v_mad_u64_u32 v[9:10], null, 0xdb629599, v1, v[4:5]
	v_cmp_lt_u32_e64 s0, 31, v6
	v_cndmask_b32_e64 v14, 0, 0xffffffe0, s0
	v_mov_b32_e32 v4, v10
	v_cndmask_b32_e32 v3, v9, v3, vcc_lo
	v_add_nc_u32_e32 v6, v14, v6
	v_mad_u64_u32 v[10:11], null, 0xf534ddc0, v1, v[4:5]
	v_cmp_lt_u32_e64 s1, 31, v6
	v_mov_b32_e32 v4, v11
	v_mad_u64_u32 v[11:12], null, 0xfc2757d1, v1, v[4:5]
	v_mov_b32_e32 v4, v12
	v_mad_u64_u32 v[12:13], null, 0x4e441529, v1, v[4:5]
	v_mov_b32_e32 v4, v13
	v_cndmask_b32_e32 v13, v12, v10, vcc_lo
	v_mad_u64_u32 v[4:5], null, 0xa2f9836e, v1, v[4:5]
	v_cndmask_b32_e64 v1, 0, 0xffffffe0, s1
	v_add_nc_u32_e32 v1, v1, v6
	v_cndmask_b32_e32 v4, v4, v11, vcc_lo
	v_cndmask_b32_e32 v5, v5, v12, vcc_lo
	;; [unrolled: 1-line block ×4, first 2 shown]
	v_sub_nc_u32_e32 v10, 32, v1
	v_cndmask_b32_e64 v8, v4, v13, s0
	v_cndmask_b32_e64 v4, v5, v4, s0
	;; [unrolled: 1-line block ×4, first 2 shown]
	v_cmp_eq_u32_e32 vcc_lo, 0, v1
	v_cndmask_b32_e64 v3, v6, v3, s0
	v_cndmask_b32_e64 v4, v4, v8, s1
	;; [unrolled: 1-line block ×5, first 2 shown]
	v_alignbit_b32 v12, v4, v8, v10
	v_alignbit_b32 v9, v8, v5, v10
	v_alignbit_b32 v10, v5, v3, v10
	v_cndmask_b32_e32 v1, v12, v4, vcc_lo
	v_cndmask_b32_e32 v4, v9, v8, vcc_lo
	;; [unrolled: 1-line block ×3, first 2 shown]
	v_bfe_u32 v6, v1, 29, 1
	v_alignbit_b32 v8, v1, v4, 30
	v_alignbit_b32 v4, v4, v5, 30
	;; [unrolled: 1-line block ×3, first 2 shown]
	v_sub_nc_u32_e32 v9, 0, v6
	v_xor_b32_e32 v8, v8, v9
	v_xor_b32_e32 v4, v4, v9
	v_xor_b32_e32 v3, v3, v9
	v_lshrrev_b32_e32 v9, 29, v1
	v_ffbh_u32_e32 v10, v8
	v_min_u32_e32 v10, 32, v10
	v_sub_nc_u32_e32 v5, 31, v10
	v_lshlrev_b32_e32 v11, 23, v10
	v_alignbit_b32 v8, v8, v4, v5
	v_alignbit_b32 v3, v4, v3, v5
	v_lshlrev_b32_e32 v4, 31, v9
	v_alignbit_b32 v5, v8, v3, 9
	v_or_b32_e32 v9, 0.5, v4
	v_lshrrev_b32_e32 v8, 9, v8
	v_or_b32_e32 v4, 0x33000000, v4
	v_ffbh_u32_e32 v12, v5
	v_sub_nc_u32_e32 v9, v9, v11
	v_min_u32_e32 v11, 32, v12
	v_or_b32_e32 v8, v8, v9
	v_not_b32_e32 v9, v11
	v_mul_f32_e32 v12, 0x3fc90fda, v8
	v_add_lshl_u32 v10, v11, v10, 23
	v_alignbit_b32 v3, v5, v3, v9
	v_fma_f32 v5, 0x3fc90fda, v8, -v12
	v_sub_nc_u32_e32 v4, v4, v10
	v_lshrrev_b32_e32 v3, 9, v3
	v_fmamk_f32 v5, v8, 0x33a22168, v5
	v_or_b32_e32 v3, v4, v3
	v_fmac_f32_e32 v5, 0x3fc90fda, v3
	v_lshrrev_b32_e32 v3, 30, v1
	v_add_f32_e32 v1, v12, v5
	v_add_nc_u32_e32 v3, v6, v3
.LBB14_280:
	s_andn2_saveexec_b32 s0, s20
; %bb.281:
	v_mul_f32_e64 v1, 0x3f22f983, |v2|
	v_rndne_f32_e32 v3, v1
	v_fma_f32 v1, 0xbfc90fda, v3, |v2|
	v_fmamk_f32 v1, v3, 0xb3a22168, v1
	v_fmamk_f32 v1, v3, 0xa7c234c4, v1
	v_cvt_i32_f32_e32 v3, v3
; %bb.282:
	s_or_b32 exec_lo, exec_lo, s0
	v_mul_f32_e32 v4, v1, v1
	s_mov_b32 s0, 0xb94c1982
	s_mov_b32 s1, 0x37d75334
	v_and_b32_e32 v8, 1, v3
	v_lshlrev_b32_e32 v3, 30, v3
	v_fmaak_f32 v5, s0, v4, 0x3c0881c4
	v_fmaak_f32 v6, s1, v4, 0xbab64f3b
	v_xor_b32_e32 v0, v0, v2
	v_cmp_eq_u32_e32 vcc_lo, 0, v8
	v_and_b32_e32 v3, 0x80000000, v3
	v_fmaak_f32 v5, v4, v5, 0xbe2aaa9d
	v_fmaak_f32 v6, v4, v6, 0x3d2aabf7
	v_mul_f32_e32 v5, v4, v5
	v_fmaak_f32 v6, v4, v6, 0xbf000004
	v_fmac_f32_e32 v1, v1, v5
	v_fma_f32 v4, v4, v6, 1.0
	v_cndmask_b32_e32 v1, v4, v1, vcc_lo
	v_cmp_class_f32_e64 vcc_lo, v2, 0x1f8
	v_xor3_b32 v0, v0, v3, v1
	v_cndmask_b32_e32 v0, 0x7fc00000, v0, vcc_lo
	v_div_scale_f32 v1, null, v2, v2, v0
	v_rcp_f32_e32 v3, v1
	v_fma_f32 v4, -v1, v3, 1.0
	v_fmac_f32_e32 v3, v4, v3
	v_div_scale_f32 v4, vcc_lo, v0, v2, v0
	v_mul_f32_e32 v5, v4, v3
	v_fma_f32 v6, -v1, v5, v4
	v_fmac_f32_e32 v5, v6, v3
	v_fma_f32 v1, -v1, v5, v4
	v_div_fmas_f32 v1, v1, v3, v5
	v_div_fixup_f32 v0, v1, v2, v0
                                        ; implicit-def: $vgpr2
.LBB14_283:
	s_andn2_saveexec_b32 s0, s19
	s_cbranch_execz .LBB14_285
; %bb.284:
	v_mul_f32_e32 v0, v2, v2
	s_mov_b32 s1, 0x2f309231
	v_fmaak_f32 v1, s1, v0, 0xb2d7322b
	v_fmaak_f32 v1, v0, v1, 0x3638ef1d
	;; [unrolled: 1-line block ×5, first 2 shown]
	v_fma_f32 v0, v0, v1, 1.0
.LBB14_285:
	s_or_b32 exec_lo, exec_lo, s0
.LBB14_286:
	s_or_b32 exec_lo, exec_lo, s17
	v_mul_lo_u32 v1, v7, s2
	s_and_b32 s1, s4, 0xff
	s_cmp_lt_i32 s1, 11
	v_ashrrev_i32_e32 v3, 31, v1
	v_add_co_u32 v2, vcc_lo, s8, v1
	v_add_co_ci_u32_e64 v3, null, s9, v3, vcc_lo
	s_cbranch_scc1 .LBB14_294
; %bb.287:
	s_and_b32 s17, 0xffff, s1
	s_cmp_gt_i32 s17, 25
	s_cbranch_scc0 .LBB14_296
; %bb.288:
	s_cmp_gt_i32 s17, 28
	s_cbranch_scc0 .LBB14_298
; %bb.289:
	;; [unrolled: 3-line block ×4, first 2 shown]
	s_mov_b32 s20, 0
	s_mov_b32 s0, -1
	s_cmp_eq_u32 s17, 46
	s_mov_b32 s19, 0
	s_cbranch_scc0 .LBB14_311
; %bb.292:
	v_bfe_u32 v1, v0, 16, 1
	v_cmp_o_f32_e32 vcc_lo, v0, v0
	v_mov_b32_e32 v4, 0x7fc0
	s_mov_b32 s19, -1
	s_mov_b32 s0, 0
	v_add3_u32 v1, v0, v1, 0x7fff
	v_cndmask_b32_sdwa v1, v4, v1, vcc_lo dst_sel:DWORD dst_unused:UNUSED_PAD src0_sel:DWORD src1_sel:WORD_1
	global_store_dword v[2:3], v1, off
	s_branch .LBB14_311
.LBB14_293:
	s_mov_b32 s17, -1
	s_mov_b32 s1, 0
	s_mov_b32 s16, s14
                                        ; implicit-def: $vgpr2
	s_branch .LBB14_448
.LBB14_294:
	s_mov_b32 s17, -1
	s_mov_b32 s19, 0
	s_mov_b32 s0, s12
	s_branch .LBB14_380
.LBB14_295:
	s_mov_b32 s17, -1
	s_mov_b32 s1, 0
	s_mov_b32 s16, s14
                                        ; implicit-def: $vgpr2
	s_branch .LBB14_429
.LBB14_296:
	s_mov_b32 s20, -1
	s_mov_b32 s19, 0
	s_mov_b32 s0, s12
	s_branch .LBB14_338
.LBB14_297:
	s_mov_b32 s17, -1
	s_mov_b32 s1, 0
	s_mov_b32 s16, s14
                                        ; implicit-def: $vgpr2
	s_branch .LBB14_424
.LBB14_298:
	s_mov_b32 s20, -1
	s_mov_b32 s19, 0
	s_mov_b32 s0, s12
	s_branch .LBB14_321
.LBB14_299:
	s_andn2_saveexec_b32 s19, s19
	s_cbranch_execz .LBB14_64
.LBB14_300:
	v_add_f32_e64 v1, 0x46000000, |v0|
	s_andn2_b32 s18, s18, exec_lo
	v_and_b32_e32 v1, 0xff, v1
	v_cmp_ne_u32_e32 vcc_lo, 0, v1
	s_and_b32 s20, vcc_lo, exec_lo
	s_or_b32 s18, s18, s20
	s_or_b32 exec_lo, exec_lo, s19
	v_mov_b32_e32 v4, 0
	s_and_saveexec_b32 s19, s18
	s_cbranch_execnz .LBB14_65
	s_branch .LBB14_66
.LBB14_301:
	s_mov_b32 s17, -1
	s_mov_b32 s1, 0
	s_mov_b32 s16, s14
	s_branch .LBB14_306
.LBB14_302:
	s_mov_b32 s20, -1
	s_mov_b32 s19, 0
	s_mov_b32 s0, s12
	s_branch .LBB14_317
.LBB14_303:
	s_andn2_saveexec_b32 s19, s19
	s_cbranch_execz .LBB14_77
.LBB14_304:
	v_add_f32_e64 v1, 0x42800000, |v0|
	s_andn2_b32 s18, s18, exec_lo
	v_and_b32_e32 v1, 0xff, v1
	v_cmp_ne_u32_e32 vcc_lo, 0, v1
	s_and_b32 s20, vcc_lo, exec_lo
	s_or_b32 s18, s18, s20
	s_or_b32 exec_lo, exec_lo, s19
	v_mov_b32_e32 v4, 0
	s_and_saveexec_b32 s19, s18
	s_cbranch_execnz .LBB14_78
	s_branch .LBB14_79
.LBB14_305:
	s_mov_b32 s16, -1
	s_mov_b32 s1, 0
.LBB14_306:
                                        ; implicit-def: $vgpr2
.LBB14_307:
	s_and_b32 vcc_lo, exec_lo, s17
	s_cbranch_vccz .LBB14_423
; %bb.308:
	s_cmp_eq_u32 s0, 44
	s_cbranch_scc0 .LBB14_422
; %bb.309:
	global_load_ubyte v2, v[0:1], off
	s_mov_b32 s16, 0
	s_mov_b32 s1, -1
	s_waitcnt vmcnt(0)
	v_lshlrev_b32_e32 v3, 23, v2
	v_cmp_ne_u32_e32 vcc_lo, 0xff, v2
	v_cndmask_b32_e32 v3, 0x7f800001, v3, vcc_lo
	v_cmp_ne_u32_e32 vcc_lo, 0, v2
	v_cndmask_b32_e32 v2, 0x400000, v3, vcc_lo
	s_branch .LBB14_423
.LBB14_310:
	s_mov_b32 s20, -1
	s_mov_b32 s19, 0
	s_mov_b32 s0, s12
.LBB14_311:
	s_and_b32 vcc_lo, exec_lo, s20
	s_cbranch_vccz .LBB14_316
; %bb.312:
	s_cmp_eq_u32 s17, 44
	s_mov_b32 s0, -1
	s_cbranch_scc0 .LBB14_316
; %bb.313:
	v_bfe_u32 v4, v0, 23, 8
	v_mov_b32_e32 v1, 0xff
	s_mov_b32 s19, exec_lo
	v_cmpx_ne_u32_e32 0xff, v4
	s_cbranch_execz .LBB14_315
; %bb.314:
	v_and_b32_e32 v1, 0x400000, v0
	v_and_or_b32 v4, 0x3fffff, v0, v4
	v_cmp_ne_u32_e32 vcc_lo, 0, v1
	v_cmp_ne_u32_e64 s0, 0, v4
	v_lshrrev_b32_e32 v1, 23, v0
	s_and_b32 s0, vcc_lo, s0
	v_cndmask_b32_e64 v4, 0, 1, s0
	v_add_nc_u32_e32 v1, v1, v4
.LBB14_315:
	s_or_b32 exec_lo, exec_lo, s19
	s_mov_b32 s19, -1
	s_mov_b32 s0, 0
	global_store_byte v[2:3], v1, off
.LBB14_316:
	s_mov_b32 s20, 0
.LBB14_317:
	s_and_b32 vcc_lo, exec_lo, s20
	s_cbranch_vccz .LBB14_320
; %bb.318:
	s_cmp_eq_u32 s17, 29
	s_mov_b32 s0, -1
	s_cbranch_scc0 .LBB14_320
; %bb.319:
	v_trunc_f32_e32 v1, v0
	s_mov_b32 s19, -1
	s_mov_b32 s0, 0
	s_mov_b32 s20, 0
	v_mul_f32_e32 v4, 0x2f800000, v1
	v_floor_f32_e32 v4, v4
	v_fmamk_f32 v1, v4, 0xcf800000, v1
	v_cvt_u32_f32_e32 v5, v4
	v_cvt_u32_f32_e32 v4, v1
	global_store_dwordx2 v[2:3], v[4:5], off
	s_branch .LBB14_321
.LBB14_320:
	s_mov_b32 s20, 0
.LBB14_321:
	s_and_b32 vcc_lo, exec_lo, s20
	s_cbranch_vccz .LBB14_337
; %bb.322:
	s_cmp_lt_i32 s17, 27
	s_mov_b32 s19, -1
	s_cbranch_scc1 .LBB14_328
; %bb.323:
	v_cvt_u32_f32_e32 v1, v0
	s_cmp_gt_i32 s17, 27
	s_cbranch_scc0 .LBB14_325
; %bb.324:
	s_mov_b32 s19, 0
	global_store_dword v[2:3], v1, off
.LBB14_325:
	s_andn2_b32 vcc_lo, exec_lo, s19
	s_cbranch_vccnz .LBB14_327
; %bb.326:
	global_store_short v[2:3], v1, off
.LBB14_327:
	s_mov_b32 s19, 0
.LBB14_328:
	s_andn2_b32 vcc_lo, exec_lo, s19
	s_cbranch_vccnz .LBB14_336
; %bb.329:
	v_and_b32_e32 v1, 0x7fffffff, v0
	v_mov_b32_e32 v4, 0x80
	s_mov_b32 s19, exec_lo
	v_cmpx_gt_u32_e32 0x43800000, v1
	s_cbranch_execz .LBB14_335
; %bb.330:
	v_cmp_lt_u32_e32 vcc_lo, 0x3bffffff, v1
	s_mov_b32 s20, 0
                                        ; implicit-def: $vgpr1
	s_and_saveexec_b32 s21, vcc_lo
	s_xor_b32 s21, exec_lo, s21
	s_cbranch_execz .LBB14_548
; %bb.331:
	v_bfe_u32 v1, v0, 20, 1
	s_mov_b32 s20, exec_lo
	v_add3_u32 v1, v0, v1, 0x487ffff
	v_lshrrev_b32_e32 v1, 20, v1
	s_andn2_saveexec_b32 s21, s21
	s_cbranch_execnz .LBB14_549
.LBB14_332:
	s_or_b32 exec_lo, exec_lo, s21
	v_mov_b32_e32 v4, 0
	s_and_saveexec_b32 s21, s20
.LBB14_333:
	v_lshrrev_b32_e32 v4, 24, v0
	v_and_or_b32 v4, 0x80, v4, v1
.LBB14_334:
	s_or_b32 exec_lo, exec_lo, s21
.LBB14_335:
	s_or_b32 exec_lo, exec_lo, s19
	global_store_byte v[2:3], v4, off
.LBB14_336:
	s_mov_b32 s19, -1
.LBB14_337:
	s_mov_b32 s20, 0
.LBB14_338:
	s_and_b32 vcc_lo, exec_lo, s20
	s_cbranch_vccz .LBB14_379
; %bb.339:
	s_cmp_gt_i32 s17, 22
	s_mov_b32 s20, -1
	s_cbranch_scc0 .LBB14_371
; %bb.340:
	s_cmp_lt_i32 s17, 24
	s_mov_b32 s19, -1
	s_cbranch_scc1 .LBB14_360
; %bb.341:
	s_cmp_gt_i32 s17, 24
	s_cbranch_scc0 .LBB14_349
; %bb.342:
	v_and_b32_e32 v1, 0x7fffffff, v0
	v_mov_b32_e32 v4, 0x80
	s_mov_b32 s19, exec_lo
	v_cmpx_gt_u32_e32 0x47800000, v1
	s_cbranch_execz .LBB14_348
; %bb.343:
	v_cmp_lt_u32_e32 vcc_lo, 0x37ffffff, v1
	s_mov_b32 s20, 0
                                        ; implicit-def: $vgpr1
	s_and_saveexec_b32 s21, vcc_lo
	s_xor_b32 s21, exec_lo, s21
	s_cbranch_execz .LBB14_551
; %bb.344:
	v_bfe_u32 v1, v0, 21, 1
	s_mov_b32 s20, exec_lo
	v_add3_u32 v1, v0, v1, 0x88fffff
	v_lshrrev_b32_e32 v1, 21, v1
	s_andn2_saveexec_b32 s21, s21
	s_cbranch_execnz .LBB14_552
.LBB14_345:
	s_or_b32 exec_lo, exec_lo, s21
	v_mov_b32_e32 v4, 0
	s_and_saveexec_b32 s21, s20
.LBB14_346:
	v_lshrrev_b32_e32 v4, 24, v0
	v_and_or_b32 v4, 0x80, v4, v1
.LBB14_347:
	s_or_b32 exec_lo, exec_lo, s21
.LBB14_348:
	s_or_b32 exec_lo, exec_lo, s19
	s_mov_b32 s19, 0
	global_store_byte v[2:3], v4, off
.LBB14_349:
	s_and_b32 vcc_lo, exec_lo, s19
	s_cbranch_vccz .LBB14_359
; %bb.350:
	v_and_b32_e32 v4, 0x7fffffff, v0
	s_mov_b32 s19, exec_lo
                                        ; implicit-def: $vgpr1
	v_cmpx_gt_u32_e32 0x43f00000, v4
	s_xor_b32 s19, exec_lo, s19
	s_cbranch_execz .LBB14_356
; %bb.351:
	s_mov_b32 s20, exec_lo
                                        ; implicit-def: $vgpr1
	v_cmpx_lt_u32_e32 0x3c7fffff, v4
	s_xor_b32 s20, exec_lo, s20
; %bb.352:
	v_bfe_u32 v1, v0, 20, 1
	v_add3_u32 v1, v0, v1, 0x407ffff
	v_and_b32_e32 v4, 0xff00000, v1
	v_lshrrev_b32_e32 v1, 20, v1
	v_cmp_ne_u32_e32 vcc_lo, 0x7f00000, v4
	v_cndmask_b32_e32 v1, 0x7e, v1, vcc_lo
; %bb.353:
	s_andn2_saveexec_b32 s20, s20
; %bb.354:
	v_add_f32_e64 v1, 0x46800000, |v0|
; %bb.355:
	s_or_b32 exec_lo, exec_lo, s20
                                        ; implicit-def: $vgpr4
.LBB14_356:
	s_andn2_saveexec_b32 s19, s19
; %bb.357:
	v_mov_b32_e32 v1, 0x7f
	v_cmp_lt_u32_e32 vcc_lo, 0x7f800000, v4
	v_cndmask_b32_e32 v1, 0x7e, v1, vcc_lo
; %bb.358:
	s_or_b32 exec_lo, exec_lo, s19
	v_lshrrev_b32_e32 v4, 24, v0
	v_and_or_b32 v1, 0x80, v4, v1
	global_store_byte v[2:3], v1, off
.LBB14_359:
	s_mov_b32 s19, 0
.LBB14_360:
	s_andn2_b32 vcc_lo, exec_lo, s19
	s_cbranch_vccnz .LBB14_370
; %bb.361:
	v_and_b32_e32 v4, 0x7fffffff, v0
	s_mov_b32 s19, exec_lo
                                        ; implicit-def: $vgpr1
	v_cmpx_gt_u32_e32 0x47800000, v4
	s_xor_b32 s19, exec_lo, s19
	s_cbranch_execz .LBB14_367
; %bb.362:
	s_mov_b32 s20, exec_lo
                                        ; implicit-def: $vgpr1
	v_cmpx_lt_u32_e32 0x387fffff, v4
	s_xor_b32 s20, exec_lo, s20
; %bb.363:
	v_bfe_u32 v1, v0, 21, 1
	v_add3_u32 v1, v0, v1, 0x80fffff
	v_lshrrev_b32_e32 v1, 21, v1
; %bb.364:
	s_andn2_saveexec_b32 s20, s20
; %bb.365:
	v_add_f32_e64 v1, 0x43000000, |v0|
; %bb.366:
	s_or_b32 exec_lo, exec_lo, s20
                                        ; implicit-def: $vgpr4
.LBB14_367:
	s_andn2_saveexec_b32 s19, s19
; %bb.368:
	v_mov_b32_e32 v1, 0x7f
	v_cmp_lt_u32_e32 vcc_lo, 0x7f800000, v4
	v_cndmask_b32_e32 v1, 0x7c, v1, vcc_lo
; %bb.369:
	s_or_b32 exec_lo, exec_lo, s19
	v_lshrrev_b32_e32 v4, 24, v0
	v_and_or_b32 v1, 0x80, v4, v1
	global_store_byte v[2:3], v1, off
.LBB14_370:
	s_mov_b32 s20, 0
	s_mov_b32 s19, -1
.LBB14_371:
	s_andn2_b32 vcc_lo, exec_lo, s20
	s_cbranch_vccnz .LBB14_379
; %bb.372:
	s_cmp_gt_i32 s17, 14
	s_mov_b32 s20, -1
	s_cbranch_scc0 .LBB14_376
; %bb.373:
	s_cmp_eq_u32 s17, 15
	s_mov_b32 s0, -1
	s_cbranch_scc0 .LBB14_375
; %bb.374:
	v_bfe_u32 v1, v0, 16, 1
	v_cmp_o_f32_e32 vcc_lo, v0, v0
	v_mov_b32_e32 v4, 0x7fc0
	s_mov_b32 s19, -1
	s_mov_b32 s0, 0
	v_add3_u32 v1, v0, v1, 0x7fff
	v_cndmask_b32_sdwa v1, v4, v1, vcc_lo dst_sel:DWORD dst_unused:UNUSED_PAD src0_sel:DWORD src1_sel:WORD_1
	global_store_short v[2:3], v1, off
.LBB14_375:
	s_mov_b32 s20, 0
.LBB14_376:
	s_and_b32 vcc_lo, exec_lo, s20
	s_cbranch_vccz .LBB14_379
; %bb.377:
	s_cmp_eq_u32 s17, 11
	s_mov_b32 s0, -1
	s_cbranch_scc0 .LBB14_379
; %bb.378:
	v_cmp_neq_f32_e32 vcc_lo, 0, v0
	s_mov_b32 s0, 0
	s_mov_b32 s19, -1
	v_cndmask_b32_e64 v1, 0, 1, vcc_lo
	global_store_byte v[2:3], v1, off
.LBB14_379:
	s_mov_b32 s17, 0
.LBB14_380:
	s_and_b32 vcc_lo, exec_lo, s17
	s_cbranch_vccz .LBB14_419
; %bb.381:
	s_and_b32 s1, 0xffff, s1
	s_mov_b32 s17, -1
	s_cmp_lt_i32 s1, 5
	s_cbranch_scc1 .LBB14_402
; %bb.382:
	s_cmp_lt_i32 s1, 8
	s_cbranch_scc1 .LBB14_392
; %bb.383:
	;; [unrolled: 3-line block ×3, first 2 shown]
	s_cmp_gt_i32 s1, 9
	s_cbranch_scc0 .LBB14_386
; %bb.385:
	v_cvt_f64_f32_e32 v[8:9], v0
	v_mov_b32_e32 v10, 0
	s_mov_b32 s17, 0
	v_mov_b32_e32 v11, v10
	global_store_dwordx4 v[2:3], v[8:11], off
.LBB14_386:
	s_andn2_b32 vcc_lo, exec_lo, s17
	s_cbranch_vccnz .LBB14_388
; %bb.387:
	v_mov_b32_e32 v1, 0
	global_store_dwordx2 v[2:3], v[0:1], off
.LBB14_388:
	s_mov_b32 s17, 0
.LBB14_389:
	s_andn2_b32 vcc_lo, exec_lo, s17
	s_cbranch_vccnz .LBB14_391
; %bb.390:
	v_cvt_f16_f32_e32 v1, v0
	v_and_b32_e32 v1, 0xffff, v1
	global_store_dword v[2:3], v1, off
.LBB14_391:
	s_mov_b32 s17, 0
.LBB14_392:
	s_andn2_b32 vcc_lo, exec_lo, s17
	s_cbranch_vccnz .LBB14_401
; %bb.393:
	s_cmp_lt_i32 s1, 6
	s_mov_b32 s17, -1
	s_cbranch_scc1 .LBB14_399
; %bb.394:
	s_cmp_gt_i32 s1, 6
	s_cbranch_scc0 .LBB14_396
; %bb.395:
	v_cvt_f64_f32_e32 v[4:5], v0
	s_mov_b32 s17, 0
	global_store_dwordx2 v[2:3], v[4:5], off
.LBB14_396:
	s_andn2_b32 vcc_lo, exec_lo, s17
	s_cbranch_vccnz .LBB14_398
; %bb.397:
	global_store_dword v[2:3], v0, off
.LBB14_398:
	s_mov_b32 s17, 0
.LBB14_399:
	s_andn2_b32 vcc_lo, exec_lo, s17
	s_cbranch_vccnz .LBB14_401
; %bb.400:
	v_cvt_f16_f32_e32 v1, v0
	global_store_short v[2:3], v1, off
.LBB14_401:
	s_mov_b32 s17, 0
.LBB14_402:
	s_andn2_b32 vcc_lo, exec_lo, s17
	s_cbranch_vccnz .LBB14_418
; %bb.403:
	s_cmp_lt_i32 s1, 2
	s_mov_b32 s17, -1
	s_cbranch_scc1 .LBB14_413
; %bb.404:
	s_cmp_lt_i32 s1, 3
	s_cbranch_scc1 .LBB14_410
; %bb.405:
	s_cmp_gt_i32 s1, 3
	s_cbranch_scc0 .LBB14_407
; %bb.406:
	v_trunc_f32_e32 v1, v0
	s_mov_b32 s17, 0
	v_mul_f32_e64 v4, 0x2f800000, |v1|
	v_floor_f32_e32 v4, v4
	v_fma_f32 v5, 0xcf800000, v4, |v1|
	v_ashrrev_i32_e32 v1, 31, v1
	v_cvt_u32_f32_e32 v4, v4
	v_cvt_u32_f32_e32 v5, v5
	v_xor_b32_e32 v6, v4, v1
	v_xor_b32_e32 v5, v5, v1
	v_sub_co_u32 v4, vcc_lo, v5, v1
	v_sub_co_ci_u32_e64 v5, null, v6, v1, vcc_lo
	global_store_dwordx2 v[2:3], v[4:5], off
.LBB14_407:
	s_andn2_b32 vcc_lo, exec_lo, s17
	s_cbranch_vccnz .LBB14_409
; %bb.408:
	v_cvt_i32_f32_e32 v1, v0
	global_store_dword v[2:3], v1, off
.LBB14_409:
	s_mov_b32 s17, 0
.LBB14_410:
	s_andn2_b32 vcc_lo, exec_lo, s17
	s_cbranch_vccnz .LBB14_412
; %bb.411:
	v_cvt_i32_f32_e32 v1, v0
	global_store_short v[2:3], v1, off
.LBB14_412:
	s_mov_b32 s17, 0
.LBB14_413:
	s_andn2_b32 vcc_lo, exec_lo, s17
	s_cbranch_vccnz .LBB14_418
; %bb.414:
	s_cmp_gt_i32 s1, 0
	s_mov_b32 s1, -1
	s_cbranch_scc0 .LBB14_416
; %bb.415:
	v_cvt_i32_f32_e32 v1, v0
	s_mov_b32 s1, 0
	global_store_byte v[2:3], v1, off
.LBB14_416:
	s_andn2_b32 vcc_lo, exec_lo, s1
	s_cbranch_vccnz .LBB14_418
; %bb.417:
	v_trunc_f32_e32 v0, v0
	v_mul_f32_e64 v1, 0x2f800000, |v0|
	v_floor_f32_e32 v1, v1
	v_fma_f32 v1, 0xcf800000, v1, |v0|
	v_ashrrev_i32_e32 v0, 31, v0
	v_cvt_u32_f32_e32 v1, v1
	v_xor_b32_e32 v1, v1, v0
	v_sub_nc_u32_e32 v0, v1, v0
	global_store_byte v[2:3], v0, off
.LBB14_418:
	s_mov_b32 s19, -1
.LBB14_419:
	s_andn2_b32 vcc_lo, exec_lo, s19
	s_cbranch_vccnz .LBB14_421
; %bb.420:
	v_add_nc_u32_e32 v7, 0x80, v7
	s_mov_b32 s1, -1
	s_branch .LBB14_534
.LBB14_421:
	s_mov_b32 s1, 0
	s_branch .LBB14_533
.LBB14_422:
	s_mov_b32 s16, -1
                                        ; implicit-def: $vgpr2
.LBB14_423:
	s_mov_b32 s17, 0
.LBB14_424:
	s_and_b32 vcc_lo, exec_lo, s17
	s_cbranch_vccz .LBB14_428
; %bb.425:
	s_cmp_eq_u32 s0, 29
	s_cbranch_scc0 .LBB14_427
; %bb.426:
	global_load_dwordx2 v[2:3], v[0:1], off
	s_mov_b32 s1, -1
	s_mov_b32 s16, 0
	s_mov_b32 s17, 0
	s_waitcnt vmcnt(0)
	v_ffbh_u32_e32 v4, v3
	v_min_u32_e32 v4, 32, v4
	v_lshlrev_b64 v[2:3], v4, v[2:3]
	v_min_u32_e32 v2, 1, v2
	v_or_b32_e32 v2, v3, v2
	v_sub_nc_u32_e32 v3, 32, v4
	v_cvt_f32_u32_e32 v2, v2
	v_ldexp_f32 v2, v2, v3
	s_branch .LBB14_429
.LBB14_427:
	s_mov_b32 s16, -1
                                        ; implicit-def: $vgpr2
.LBB14_428:
	s_mov_b32 s17, 0
.LBB14_429:
	s_and_b32 vcc_lo, exec_lo, s17
	s_cbranch_vccz .LBB14_447
; %bb.430:
	s_cmp_lt_i32 s0, 27
	s_cbranch_scc1 .LBB14_433
; %bb.431:
	s_cmp_gt_i32 s0, 27
	s_cbranch_scc0 .LBB14_434
; %bb.432:
	global_load_dword v2, v[0:1], off
	s_mov_b32 s1, 0
	s_waitcnt vmcnt(0)
	v_cvt_f32_u32_e32 v2, v2
	s_branch .LBB14_435
.LBB14_433:
	s_mov_b32 s1, -1
                                        ; implicit-def: $vgpr2
	s_branch .LBB14_438
.LBB14_434:
	s_mov_b32 s1, -1
                                        ; implicit-def: $vgpr2
.LBB14_435:
	s_andn2_b32 vcc_lo, exec_lo, s1
	s_cbranch_vccnz .LBB14_437
; %bb.436:
	global_load_ushort v2, v[0:1], off
	s_waitcnt vmcnt(0)
	v_cvt_f32_u32_e32 v2, v2
.LBB14_437:
	s_mov_b32 s1, 0
.LBB14_438:
	s_andn2_b32 vcc_lo, exec_lo, s1
	s_cbranch_vccnz .LBB14_446
; %bb.439:
	global_load_ubyte v3, v[0:1], off
	s_mov_b32 s1, 0
	s_mov_b32 s17, exec_lo
	s_waitcnt vmcnt(0)
	v_cmpx_lt_i16_e32 0x7f, v3
	s_xor_b32 s17, exec_lo, s17
	s_cbranch_execz .LBB14_460
; %bb.440:
	s_mov_b32 s1, -1
	s_mov_b32 s19, exec_lo
	v_cmpx_eq_u16_e32 0x80, v3
; %bb.441:
	s_xor_b32 s1, exec_lo, -1
; %bb.442:
	s_or_b32 exec_lo, exec_lo, s19
	s_and_b32 s1, s1, exec_lo
	s_or_saveexec_b32 s17, s17
	v_mov_b32_e32 v2, 0x7f800001
	s_xor_b32 exec_lo, exec_lo, s17
	s_cbranch_execnz .LBB14_461
.LBB14_443:
	s_or_b32 exec_lo, exec_lo, s17
	s_and_saveexec_b32 s17, s1
	s_cbranch_execz .LBB14_445
.LBB14_444:
	v_and_b32_e32 v2, 0xffff, v3
	v_lshlrev_b32_e32 v3, 24, v3
	v_and_b32_e32 v4, 7, v2
	v_bfe_u32 v8, v2, 3, 4
	v_and_b32_e32 v3, 0x80000000, v3
	v_ffbh_u32_e32 v5, v4
	v_cmp_eq_u32_e32 vcc_lo, 0, v8
	v_min_u32_e32 v5, 32, v5
	v_subrev_nc_u32_e32 v6, 28, v5
	v_sub_nc_u32_e32 v5, 29, v5
	v_lshlrev_b32_e32 v2, v6, v2
	v_cndmask_b32_e32 v5, v8, v5, vcc_lo
	v_and_b32_e32 v2, 7, v2
	v_cndmask_b32_e32 v2, v4, v2, vcc_lo
	v_lshl_add_u32 v4, v5, 23, 0x3b800000
	v_lshlrev_b32_e32 v2, 20, v2
	v_or3_b32 v2, v3, v4, v2
.LBB14_445:
	s_or_b32 exec_lo, exec_lo, s17
.LBB14_446:
	s_mov_b32 s1, -1
.LBB14_447:
	s_mov_b32 s17, 0
.LBB14_448:
	s_and_b32 vcc_lo, exec_lo, s17
	s_cbranch_vccz .LBB14_483
; %bb.449:
	s_cmp_gt_i32 s0, 22
	s_cbranch_scc0 .LBB14_459
; %bb.450:
	s_cmp_lt_i32 s0, 24
	s_cbranch_scc1 .LBB14_462
; %bb.451:
	s_cmp_gt_i32 s0, 24
	s_cbranch_scc0 .LBB14_463
; %bb.452:
	global_load_ubyte v3, v[0:1], off
	s_mov_b32 s1, 0
	s_mov_b32 s17, exec_lo
	s_waitcnt vmcnt(0)
	v_cmpx_lt_i16_e32 0x7f, v3
	s_xor_b32 s17, exec_lo, s17
	s_cbranch_execz .LBB14_475
; %bb.453:
	s_mov_b32 s1, -1
	s_mov_b32 s19, exec_lo
	v_cmpx_eq_u16_e32 0x80, v3
; %bb.454:
	s_xor_b32 s1, exec_lo, -1
; %bb.455:
	s_or_b32 exec_lo, exec_lo, s19
	s_and_b32 s1, s1, exec_lo
	s_or_saveexec_b32 s17, s17
	v_mov_b32_e32 v2, 0x7f800001
	s_xor_b32 exec_lo, exec_lo, s17
	s_cbranch_execnz .LBB14_476
.LBB14_456:
	s_or_b32 exec_lo, exec_lo, s17
	s_and_saveexec_b32 s17, s1
	s_cbranch_execz .LBB14_458
.LBB14_457:
	v_and_b32_e32 v2, 0xffff, v3
	v_lshlrev_b32_e32 v3, 24, v3
	v_and_b32_e32 v4, 3, v2
	v_bfe_u32 v8, v2, 2, 5
	v_and_b32_e32 v3, 0x80000000, v3
	v_ffbh_u32_e32 v5, v4
	v_cmp_eq_u32_e32 vcc_lo, 0, v8
	v_min_u32_e32 v5, 32, v5
	v_subrev_nc_u32_e32 v6, 29, v5
	v_sub_nc_u32_e32 v5, 30, v5
	v_lshlrev_b32_e32 v2, v6, v2
	v_cndmask_b32_e32 v5, v8, v5, vcc_lo
	v_and_b32_e32 v2, 3, v2
	v_cndmask_b32_e32 v2, v4, v2, vcc_lo
	v_lshl_add_u32 v4, v5, 23, 0x37800000
	v_lshlrev_b32_e32 v2, 21, v2
	v_or3_b32 v2, v3, v4, v2
.LBB14_458:
	s_or_b32 exec_lo, exec_lo, s17
	s_mov_b32 s1, 0
	s_branch .LBB14_464
.LBB14_459:
	s_mov_b32 s17, -1
                                        ; implicit-def: $vgpr2
	s_branch .LBB14_470
.LBB14_460:
	s_or_saveexec_b32 s17, s17
	v_mov_b32_e32 v2, 0x7f800001
	s_xor_b32 exec_lo, exec_lo, s17
	s_cbranch_execz .LBB14_443
.LBB14_461:
	v_cmp_ne_u16_e32 vcc_lo, 0, v3
	v_mov_b32_e32 v2, 0
	s_andn2_b32 s1, s1, exec_lo
	s_and_b32 s19, vcc_lo, exec_lo
	s_or_b32 s1, s1, s19
	s_or_b32 exec_lo, exec_lo, s17
	s_and_saveexec_b32 s17, s1
	s_cbranch_execnz .LBB14_444
	s_branch .LBB14_445
.LBB14_462:
	s_mov_b32 s1, -1
                                        ; implicit-def: $vgpr2
	s_branch .LBB14_467
.LBB14_463:
	s_mov_b32 s1, -1
                                        ; implicit-def: $vgpr2
.LBB14_464:
	s_and_b32 vcc_lo, exec_lo, s1
	s_cbranch_vccz .LBB14_466
; %bb.465:
	global_load_ubyte v2, v[0:1], off
	s_waitcnt vmcnt(0)
	v_lshlrev_b32_e32 v2, 24, v2
	v_and_b32_e32 v3, 0x7f000000, v2
	v_ffbh_u32_e32 v4, v3
	v_add_nc_u32_e32 v6, 0x1000000, v3
	v_cmp_ne_u32_e32 vcc_lo, 0, v3
	v_min_u32_e32 v4, 32, v4
	v_sub_nc_u32_e64 v4, v4, 4 clamp
	v_lshlrev_b32_e32 v5, v4, v3
	v_lshlrev_b32_e32 v4, 23, v4
	v_lshrrev_b32_e32 v5, 4, v5
	v_sub_nc_u32_e32 v4, v5, v4
	v_ashrrev_i32_e32 v5, 8, v6
	v_add_nc_u32_e32 v4, 0x3c000000, v4
	v_and_or_b32 v4, 0x7f800000, v5, v4
	v_cndmask_b32_e32 v3, 0, v4, vcc_lo
	v_and_or_b32 v2, 0x80000000, v2, v3
.LBB14_466:
	s_mov_b32 s1, 0
.LBB14_467:
	s_andn2_b32 vcc_lo, exec_lo, s1
	s_cbranch_vccnz .LBB14_469
; %bb.468:
	global_load_ubyte v2, v[0:1], off
	s_waitcnt vmcnt(0)
	v_lshlrev_b32_e32 v3, 25, v2
	v_lshlrev_b16 v2, 8, v2
	v_lshrrev_b32_e32 v4, 4, v3
	v_and_or_b32 v5, 0x7f00, v2, 0.5
	v_cmp_gt_u32_e32 vcc_lo, 0x8000000, v3
	v_bfe_i32 v2, v2, 0, 16
	v_or_b32_e32 v4, 0x70000000, v4
	v_add_f32_e32 v5, -0.5, v5
	v_mul_f32_e32 v4, 0x7800000, v4
	v_cndmask_b32_e32 v3, v4, v5, vcc_lo
	v_and_or_b32 v2, 0x80000000, v2, v3
.LBB14_469:
	s_mov_b32 s17, 0
	s_mov_b32 s1, -1
.LBB14_470:
	s_andn2_b32 vcc_lo, exec_lo, s17
	s_cbranch_vccnz .LBB14_483
; %bb.471:
	s_cmp_gt_i32 s0, 14
	s_cbranch_scc0 .LBB14_474
; %bb.472:
	s_cmp_eq_u32 s0, 15
	s_cbranch_scc0 .LBB14_477
; %bb.473:
	global_load_ushort v2, v[0:1], off
	s_mov_b32 s1, -1
	s_mov_b32 s16, 0
	s_waitcnt vmcnt(0)
	v_lshlrev_b32_e32 v2, 16, v2
	s_branch .LBB14_478
.LBB14_474:
	s_mov_b32 s17, -1
                                        ; implicit-def: $vgpr2
	s_branch .LBB14_479
.LBB14_475:
	s_or_saveexec_b32 s17, s17
	v_mov_b32_e32 v2, 0x7f800001
	s_xor_b32 exec_lo, exec_lo, s17
	s_cbranch_execz .LBB14_456
.LBB14_476:
	v_cmp_ne_u16_e32 vcc_lo, 0, v3
	v_mov_b32_e32 v2, 0
	s_andn2_b32 s1, s1, exec_lo
	s_and_b32 s19, vcc_lo, exec_lo
	s_or_b32 s1, s1, s19
	s_or_b32 exec_lo, exec_lo, s17
	s_and_saveexec_b32 s17, s1
	s_cbranch_execnz .LBB14_457
	s_branch .LBB14_458
.LBB14_477:
	s_mov_b32 s16, -1
                                        ; implicit-def: $vgpr2
.LBB14_478:
	s_mov_b32 s17, 0
.LBB14_479:
	s_and_b32 vcc_lo, exec_lo, s17
	s_cbranch_vccz .LBB14_483
; %bb.480:
	s_cmp_eq_u32 s0, 11
	s_cbranch_scc0 .LBB14_482
; %bb.481:
	global_load_ubyte v2, v[0:1], off
	s_mov_b32 s16, 0
	s_mov_b32 s1, -1
	s_waitcnt vmcnt(0)
	v_cmp_ne_u16_e32 vcc_lo, 0, v2
	v_cndmask_b32_e64 v2, 0, 1.0, vcc_lo
	s_branch .LBB14_483
.LBB14_482:
	s_mov_b32 s16, -1
                                        ; implicit-def: $vgpr2
.LBB14_483:
	s_branch .LBB14_275
.LBB14_484:
	s_cmp_lt_i32 s0, 5
	s_cbranch_scc1 .LBB14_489
; %bb.485:
	s_cmp_lt_i32 s0, 8
	s_cbranch_scc1 .LBB14_490
; %bb.486:
	;; [unrolled: 3-line block ×3, first 2 shown]
	s_cmp_gt_i32 s0, 9
	s_cbranch_scc0 .LBB14_492
; %bb.488:
	global_load_dwordx2 v[2:3], v[0:1], off
	s_mov_b32 s1, 0
	s_waitcnt vmcnt(0)
	v_cvt_f32_f64_e32 v2, v[2:3]
	s_branch .LBB14_493
.LBB14_489:
	s_mov_b32 s1, -1
                                        ; implicit-def: $vgpr2
	s_branch .LBB14_511
.LBB14_490:
	s_mov_b32 s1, -1
                                        ; implicit-def: $vgpr2
	s_branch .LBB14_499
.LBB14_491:
	s_mov_b32 s1, -1
                                        ; implicit-def: $vgpr2
	s_branch .LBB14_496
.LBB14_492:
	s_mov_b32 s1, -1
                                        ; implicit-def: $vgpr2
.LBB14_493:
	s_andn2_b32 vcc_lo, exec_lo, s1
	s_cbranch_vccnz .LBB14_495
; %bb.494:
	global_load_dword v2, v[0:1], off
.LBB14_495:
	s_mov_b32 s1, 0
.LBB14_496:
	s_andn2_b32 vcc_lo, exec_lo, s1
	s_cbranch_vccnz .LBB14_498
; %bb.497:
	global_load_dword v2, v[0:1], off
	s_waitcnt vmcnt(0)
	v_cvt_f32_f16_e32 v2, v2
.LBB14_498:
	s_mov_b32 s1, 0
.LBB14_499:
	s_andn2_b32 vcc_lo, exec_lo, s1
	s_cbranch_vccnz .LBB14_510
; %bb.500:
	s_cmp_lt_i32 s0, 6
	s_cbranch_scc1 .LBB14_503
; %bb.501:
	s_cmp_gt_i32 s0, 6
	s_cbranch_scc0 .LBB14_504
; %bb.502:
	global_load_dwordx2 v[2:3], v[0:1], off
	s_mov_b32 s1, 0
	s_waitcnt vmcnt(0)
	v_cvt_f32_f64_e32 v2, v[2:3]
	s_branch .LBB14_505
.LBB14_503:
	s_mov_b32 s1, -1
                                        ; implicit-def: $vgpr2
	s_branch .LBB14_508
.LBB14_504:
	s_mov_b32 s1, -1
                                        ; implicit-def: $vgpr2
.LBB14_505:
	s_andn2_b32 vcc_lo, exec_lo, s1
	s_cbranch_vccnz .LBB14_507
; %bb.506:
	global_load_dword v2, v[0:1], off
.LBB14_507:
	s_mov_b32 s1, 0
.LBB14_508:
	s_andn2_b32 vcc_lo, exec_lo, s1
	s_cbranch_vccnz .LBB14_510
; %bb.509:
	global_load_ushort v2, v[0:1], off
	s_waitcnt vmcnt(0)
	v_cvt_f32_f16_e32 v2, v2
.LBB14_510:
	s_mov_b32 s1, 0
.LBB14_511:
	s_andn2_b32 vcc_lo, exec_lo, s1
	s_cbranch_vccnz .LBB14_531
; %bb.512:
	s_cmp_lt_i32 s0, 2
	s_cbranch_scc1 .LBB14_516
; %bb.513:
	s_cmp_lt_i32 s0, 3
	s_cbranch_scc1 .LBB14_517
; %bb.514:
	s_cmp_gt_i32 s0, 3
	s_cbranch_scc0 .LBB14_518
; %bb.515:
	global_load_dwordx2 v[2:3], v[0:1], off
	s_mov_b32 s1, 0
	s_waitcnt vmcnt(0)
	v_xor_b32_e32 v4, v2, v3
	v_ffbh_i32_e32 v5, v3
	v_ashrrev_i32_e32 v4, 31, v4
	v_add_nc_u32_e32 v5, -1, v5
	v_add_nc_u32_e32 v4, 32, v4
	v_min_u32_e32 v4, v5, v4
	v_lshlrev_b64 v[2:3], v4, v[2:3]
	v_min_u32_e32 v2, 1, v2
	v_or_b32_e32 v2, v3, v2
	v_sub_nc_u32_e32 v3, 32, v4
	v_cvt_f32_i32_e32 v2, v2
	v_ldexp_f32 v2, v2, v3
	s_branch .LBB14_519
.LBB14_516:
	s_mov_b32 s1, -1
                                        ; implicit-def: $vgpr2
	s_branch .LBB14_525
.LBB14_517:
	s_mov_b32 s1, -1
                                        ; implicit-def: $vgpr2
	s_branch .LBB14_522
.LBB14_518:
	s_mov_b32 s1, -1
                                        ; implicit-def: $vgpr2
.LBB14_519:
	s_andn2_b32 vcc_lo, exec_lo, s1
	s_cbranch_vccnz .LBB14_521
; %bb.520:
	global_load_dword v2, v[0:1], off
	s_waitcnt vmcnt(0)
	v_cvt_f32_i32_e32 v2, v2
.LBB14_521:
	s_mov_b32 s1, 0
.LBB14_522:
	s_andn2_b32 vcc_lo, exec_lo, s1
	s_cbranch_vccnz .LBB14_524
; %bb.523:
	global_load_sshort v2, v[0:1], off
	s_waitcnt vmcnt(0)
	v_cvt_f32_i32_e32 v2, v2
.LBB14_524:
	s_mov_b32 s1, 0
.LBB14_525:
	s_andn2_b32 vcc_lo, exec_lo, s1
	s_cbranch_vccnz .LBB14_531
; %bb.526:
	s_cmp_gt_i32 s0, 0
	s_mov_b32 s0, 0
	s_cbranch_scc0 .LBB14_528
; %bb.527:
	global_load_sbyte v2, v[0:1], off
	s_waitcnt vmcnt(0)
	v_cvt_f32_i32_e32 v2, v2
	s_branch .LBB14_529
.LBB14_528:
	s_mov_b32 s0, -1
                                        ; implicit-def: $vgpr2
.LBB14_529:
	s_andn2_b32 vcc_lo, exec_lo, s0
	s_cbranch_vccnz .LBB14_531
; %bb.530:
	global_load_ubyte v0, v[0:1], off
	s_waitcnt vmcnt(0)
	v_cvt_f32_ubyte0_e32 v2, v0
.LBB14_531:
	s_branch .LBB14_276
.LBB14_532:
	s_mov_b32 s1, 0
	s_mov_b32 s0, s12
.LBB14_533:
                                        ; implicit-def: $vgpr7
.LBB14_534:
	s_andn2_b32 s17, s12, exec_lo
	s_and_b32 s0, s0, exec_lo
	s_andn2_b32 s19, s14, exec_lo
	s_and_b32 s16, s16, exec_lo
	s_or_b32 s17, s17, s0
	s_or_b32 s16, s19, s16
	s_orn2_b32 s0, s1, exec_lo
.LBB14_535:
	s_or_b32 exec_lo, exec_lo, s18
	s_mov_b32 s1, 0
	s_mov_b32 s19, 0
	;; [unrolled: 1-line block ×3, first 2 shown]
                                        ; implicit-def: $vgpr0_vgpr1
                                        ; implicit-def: $vgpr4
	s_and_saveexec_b32 s18, s0
	s_cbranch_execz .LBB14_892
; %bb.536:
	s_mov_b32 s20, -1
	s_mov_b32 s0, s16
	s_mov_b32 s1, s17
	s_mov_b32 s19, exec_lo
	v_cmpx_gt_i32_e64 s13, v7
	s_cbranch_execz .LBB14_806
; %bb.537:
	v_mul_lo_u32 v0, v7, s3
	s_and_b32 s0, 0xffff, s6
	s_cmp_lt_i32 s0, 11
	v_ashrrev_i32_e32 v1, 31, v0
	v_add_co_u32 v0, vcc_lo, s10, v0
	v_add_co_ci_u32_e64 v1, null, s11, v1, vcc_lo
	s_cbranch_scc1 .LBB14_544
; %bb.538:
	s_cmp_gt_i32 s0, 25
	s_cbranch_scc0 .LBB14_545
; %bb.539:
	s_cmp_gt_i32 s0, 28
	s_cbranch_scc0 .LBB14_546
	;; [unrolled: 3-line block ×4, first 2 shown]
; %bb.542:
	s_cmp_eq_u32 s0, 46
	s_mov_b32 s21, 0
	s_cbranch_scc0 .LBB14_553
; %bb.543:
	global_load_dword v2, v[0:1], off
	s_mov_b32 s1, -1
	s_mov_b32 s20, 0
	s_waitcnt vmcnt(0)
	v_lshlrev_b32_e32 v2, 16, v2
	s_branch .LBB14_555
.LBB14_544:
	s_mov_b32 s21, -1
	s_mov_b32 s1, 0
	s_mov_b32 s20, s16
                                        ; implicit-def: $vgpr2
	s_branch .LBB14_620
.LBB14_545:
	s_mov_b32 s21, -1
	s_mov_b32 s1, 0
	s_mov_b32 s20, s16
                                        ; implicit-def: $vgpr2
	s_branch .LBB14_584
.LBB14_546:
	s_mov_b32 s21, -1
	s_mov_b32 s1, 0
	s_mov_b32 s20, s16
                                        ; implicit-def: $vgpr2
	s_branch .LBB14_565
.LBB14_547:
	s_mov_b32 s21, -1
	s_mov_b32 s1, 0
	s_mov_b32 s20, s16
                                        ; implicit-def: $vgpr2
	s_branch .LBB14_560
.LBB14_548:
	s_andn2_saveexec_b32 s21, s21
	s_cbranch_execz .LBB14_332
.LBB14_549:
	v_add_f32_e64 v1, 0x46000000, |v0|
	s_andn2_b32 s20, s20, exec_lo
	v_and_b32_e32 v1, 0xff, v1
	v_cmp_ne_u32_e32 vcc_lo, 0, v1
	s_and_b32 s22, vcc_lo, exec_lo
	s_or_b32 s20, s20, s22
	s_or_b32 exec_lo, exec_lo, s21
	v_mov_b32_e32 v4, 0
	s_and_saveexec_b32 s21, s20
	s_cbranch_execnz .LBB14_333
	s_branch .LBB14_334
.LBB14_550:
	s_mov_b32 s21, -1
	s_mov_b32 s1, 0
	s_mov_b32 s20, s16
	s_branch .LBB14_554
.LBB14_551:
	s_andn2_saveexec_b32 s21, s21
	s_cbranch_execz .LBB14_345
.LBB14_552:
	v_add_f32_e64 v1, 0x42800000, |v0|
	s_andn2_b32 s20, s20, exec_lo
	v_and_b32_e32 v1, 0xff, v1
	v_cmp_ne_u32_e32 vcc_lo, 0, v1
	s_and_b32 s22, vcc_lo, exec_lo
	s_or_b32 s20, s20, s22
	s_or_b32 exec_lo, exec_lo, s21
	v_mov_b32_e32 v4, 0
	s_and_saveexec_b32 s21, s20
	s_cbranch_execnz .LBB14_346
	s_branch .LBB14_347
.LBB14_553:
	s_mov_b32 s1, 0
.LBB14_554:
                                        ; implicit-def: $vgpr2
.LBB14_555:
	s_and_b32 vcc_lo, exec_lo, s21
	s_cbranch_vccz .LBB14_559
; %bb.556:
	s_cmp_eq_u32 s0, 44
	s_cbranch_scc0 .LBB14_558
; %bb.557:
	global_load_ubyte v2, v[0:1], off
	s_mov_b32 s20, 0
	s_mov_b32 s1, -1
	s_waitcnt vmcnt(0)
	v_lshlrev_b32_e32 v3, 23, v2
	v_cmp_ne_u32_e32 vcc_lo, 0xff, v2
	v_cndmask_b32_e32 v3, 0x7f800001, v3, vcc_lo
	v_cmp_ne_u32_e32 vcc_lo, 0, v2
	v_cndmask_b32_e32 v2, 0x400000, v3, vcc_lo
	s_branch .LBB14_559
.LBB14_558:
	s_mov_b32 s20, -1
                                        ; implicit-def: $vgpr2
.LBB14_559:
	s_mov_b32 s21, 0
.LBB14_560:
	s_and_b32 vcc_lo, exec_lo, s21
	s_cbranch_vccz .LBB14_564
; %bb.561:
	s_cmp_eq_u32 s0, 29
	s_cbranch_scc0 .LBB14_563
; %bb.562:
	global_load_dwordx2 v[2:3], v[0:1], off
	s_mov_b32 s1, -1
	s_mov_b32 s20, 0
	s_mov_b32 s21, 0
	s_waitcnt vmcnt(0)
	v_ffbh_u32_e32 v4, v3
	v_min_u32_e32 v4, 32, v4
	v_lshlrev_b64 v[2:3], v4, v[2:3]
	v_min_u32_e32 v2, 1, v2
	v_or_b32_e32 v2, v3, v2
	v_sub_nc_u32_e32 v3, 32, v4
	v_cvt_f32_u32_e32 v2, v2
	v_ldexp_f32 v2, v2, v3
	s_branch .LBB14_565
.LBB14_563:
	s_mov_b32 s20, -1
                                        ; implicit-def: $vgpr2
.LBB14_564:
	s_mov_b32 s21, 0
.LBB14_565:
	s_and_b32 vcc_lo, exec_lo, s21
	s_cbranch_vccz .LBB14_583
; %bb.566:
	s_cmp_lt_i32 s0, 27
	s_cbranch_scc1 .LBB14_569
; %bb.567:
	s_cmp_gt_i32 s0, 27
	s_cbranch_scc0 .LBB14_570
; %bb.568:
	global_load_dword v2, v[0:1], off
	s_mov_b32 s1, 0
	s_waitcnt vmcnt(0)
	v_cvt_f32_u32_e32 v2, v2
	s_branch .LBB14_571
.LBB14_569:
	s_mov_b32 s1, -1
                                        ; implicit-def: $vgpr2
	s_branch .LBB14_574
.LBB14_570:
	s_mov_b32 s1, -1
                                        ; implicit-def: $vgpr2
.LBB14_571:
	s_andn2_b32 vcc_lo, exec_lo, s1
	s_cbranch_vccnz .LBB14_573
; %bb.572:
	global_load_ushort v2, v[0:1], off
	s_waitcnt vmcnt(0)
	v_cvt_f32_u32_e32 v2, v2
.LBB14_573:
	s_mov_b32 s1, 0
.LBB14_574:
	s_andn2_b32 vcc_lo, exec_lo, s1
	s_cbranch_vccnz .LBB14_582
; %bb.575:
	global_load_ubyte v3, v[0:1], off
	s_mov_b32 s1, 0
	s_mov_b32 s21, exec_lo
	s_waitcnt vmcnt(0)
	v_cmpx_lt_i16_e32 0x7f, v3
	s_xor_b32 s21, exec_lo, s21
	s_cbranch_execz .LBB14_596
; %bb.576:
	s_mov_b32 s1, -1
	s_mov_b32 s22, exec_lo
	v_cmpx_eq_u16_e32 0x80, v3
; %bb.577:
	s_xor_b32 s1, exec_lo, -1
; %bb.578:
	s_or_b32 exec_lo, exec_lo, s22
	s_and_b32 s1, s1, exec_lo
	s_or_saveexec_b32 s21, s21
	v_mov_b32_e32 v2, 0x7f800001
	s_xor_b32 exec_lo, exec_lo, s21
	s_cbranch_execnz .LBB14_597
.LBB14_579:
	s_or_b32 exec_lo, exec_lo, s21
	s_and_saveexec_b32 s21, s1
	s_cbranch_execz .LBB14_581
.LBB14_580:
	v_and_b32_e32 v2, 0xffff, v3
	v_lshlrev_b32_e32 v3, 24, v3
	v_and_b32_e32 v4, 7, v2
	v_bfe_u32 v8, v2, 3, 4
	v_and_b32_e32 v3, 0x80000000, v3
	v_ffbh_u32_e32 v5, v4
	v_cmp_eq_u32_e32 vcc_lo, 0, v8
	v_min_u32_e32 v5, 32, v5
	v_subrev_nc_u32_e32 v6, 28, v5
	v_sub_nc_u32_e32 v5, 29, v5
	v_lshlrev_b32_e32 v2, v6, v2
	v_cndmask_b32_e32 v5, v8, v5, vcc_lo
	v_and_b32_e32 v2, 7, v2
	v_cndmask_b32_e32 v2, v4, v2, vcc_lo
	v_lshl_add_u32 v4, v5, 23, 0x3b800000
	v_lshlrev_b32_e32 v2, 20, v2
	v_or3_b32 v2, v3, v4, v2
.LBB14_581:
	s_or_b32 exec_lo, exec_lo, s21
.LBB14_582:
	s_mov_b32 s1, -1
.LBB14_583:
	s_mov_b32 s21, 0
.LBB14_584:
	s_and_b32 vcc_lo, exec_lo, s21
	s_cbranch_vccz .LBB14_619
; %bb.585:
	s_cmp_gt_i32 s0, 22
	s_cbranch_scc0 .LBB14_595
; %bb.586:
	s_cmp_lt_i32 s0, 24
	s_cbranch_scc1 .LBB14_598
; %bb.587:
	s_cmp_gt_i32 s0, 24
	s_cbranch_scc0 .LBB14_599
; %bb.588:
	global_load_ubyte v3, v[0:1], off
	s_mov_b32 s1, 0
	s_mov_b32 s21, exec_lo
	s_waitcnt vmcnt(0)
	v_cmpx_lt_i16_e32 0x7f, v3
	s_xor_b32 s21, exec_lo, s21
	s_cbranch_execz .LBB14_611
; %bb.589:
	s_mov_b32 s1, -1
	s_mov_b32 s22, exec_lo
	v_cmpx_eq_u16_e32 0x80, v3
; %bb.590:
	s_xor_b32 s1, exec_lo, -1
; %bb.591:
	s_or_b32 exec_lo, exec_lo, s22
	s_and_b32 s1, s1, exec_lo
	s_or_saveexec_b32 s21, s21
	v_mov_b32_e32 v2, 0x7f800001
	s_xor_b32 exec_lo, exec_lo, s21
	s_cbranch_execnz .LBB14_612
.LBB14_592:
	s_or_b32 exec_lo, exec_lo, s21
	s_and_saveexec_b32 s21, s1
	s_cbranch_execz .LBB14_594
.LBB14_593:
	v_and_b32_e32 v2, 0xffff, v3
	v_lshlrev_b32_e32 v3, 24, v3
	v_and_b32_e32 v4, 3, v2
	v_bfe_u32 v8, v2, 2, 5
	v_and_b32_e32 v3, 0x80000000, v3
	v_ffbh_u32_e32 v5, v4
	v_cmp_eq_u32_e32 vcc_lo, 0, v8
	v_min_u32_e32 v5, 32, v5
	v_subrev_nc_u32_e32 v6, 29, v5
	v_sub_nc_u32_e32 v5, 30, v5
	v_lshlrev_b32_e32 v2, v6, v2
	v_cndmask_b32_e32 v5, v8, v5, vcc_lo
	v_and_b32_e32 v2, 3, v2
	v_cndmask_b32_e32 v2, v4, v2, vcc_lo
	v_lshl_add_u32 v4, v5, 23, 0x37800000
	v_lshlrev_b32_e32 v2, 21, v2
	v_or3_b32 v2, v3, v4, v2
.LBB14_594:
	s_or_b32 exec_lo, exec_lo, s21
	s_mov_b32 s1, 0
	s_branch .LBB14_600
.LBB14_595:
	s_mov_b32 s21, -1
                                        ; implicit-def: $vgpr2
	s_branch .LBB14_606
.LBB14_596:
	s_or_saveexec_b32 s21, s21
	v_mov_b32_e32 v2, 0x7f800001
	s_xor_b32 exec_lo, exec_lo, s21
	s_cbranch_execz .LBB14_579
.LBB14_597:
	v_cmp_ne_u16_e32 vcc_lo, 0, v3
	v_mov_b32_e32 v2, 0
	s_andn2_b32 s1, s1, exec_lo
	s_and_b32 s22, vcc_lo, exec_lo
	s_or_b32 s1, s1, s22
	s_or_b32 exec_lo, exec_lo, s21
	s_and_saveexec_b32 s21, s1
	s_cbranch_execnz .LBB14_580
	s_branch .LBB14_581
.LBB14_598:
	s_mov_b32 s1, -1
                                        ; implicit-def: $vgpr2
	s_branch .LBB14_603
.LBB14_599:
	s_mov_b32 s1, -1
                                        ; implicit-def: $vgpr2
.LBB14_600:
	s_and_b32 vcc_lo, exec_lo, s1
	s_cbranch_vccz .LBB14_602
; %bb.601:
	global_load_ubyte v2, v[0:1], off
	s_waitcnt vmcnt(0)
	v_lshlrev_b32_e32 v2, 24, v2
	v_and_b32_e32 v3, 0x7f000000, v2
	v_ffbh_u32_e32 v4, v3
	v_add_nc_u32_e32 v6, 0x1000000, v3
	v_cmp_ne_u32_e32 vcc_lo, 0, v3
	v_min_u32_e32 v4, 32, v4
	v_sub_nc_u32_e64 v4, v4, 4 clamp
	v_lshlrev_b32_e32 v5, v4, v3
	v_lshlrev_b32_e32 v4, 23, v4
	v_lshrrev_b32_e32 v5, 4, v5
	v_sub_nc_u32_e32 v4, v5, v4
	v_ashrrev_i32_e32 v5, 8, v6
	v_add_nc_u32_e32 v4, 0x3c000000, v4
	v_and_or_b32 v4, 0x7f800000, v5, v4
	v_cndmask_b32_e32 v3, 0, v4, vcc_lo
	v_and_or_b32 v2, 0x80000000, v2, v3
.LBB14_602:
	s_mov_b32 s1, 0
.LBB14_603:
	s_andn2_b32 vcc_lo, exec_lo, s1
	s_cbranch_vccnz .LBB14_605
; %bb.604:
	global_load_ubyte v2, v[0:1], off
	s_waitcnt vmcnt(0)
	v_lshlrev_b32_e32 v3, 25, v2
	v_lshlrev_b16 v2, 8, v2
	v_lshrrev_b32_e32 v4, 4, v3
	v_and_or_b32 v5, 0x7f00, v2, 0.5
	v_cmp_gt_u32_e32 vcc_lo, 0x8000000, v3
	v_bfe_i32 v2, v2, 0, 16
	v_or_b32_e32 v4, 0x70000000, v4
	v_add_f32_e32 v5, -0.5, v5
	v_mul_f32_e32 v4, 0x7800000, v4
	v_cndmask_b32_e32 v3, v4, v5, vcc_lo
	v_and_or_b32 v2, 0x80000000, v2, v3
.LBB14_605:
	s_mov_b32 s21, 0
	s_mov_b32 s1, -1
.LBB14_606:
	s_andn2_b32 vcc_lo, exec_lo, s21
	s_cbranch_vccnz .LBB14_619
; %bb.607:
	s_cmp_gt_i32 s0, 14
	s_cbranch_scc0 .LBB14_610
; %bb.608:
	s_cmp_eq_u32 s0, 15
	s_cbranch_scc0 .LBB14_613
; %bb.609:
	global_load_ushort v2, v[0:1], off
	s_mov_b32 s1, -1
	s_mov_b32 s20, 0
	s_waitcnt vmcnt(0)
	v_lshlrev_b32_e32 v2, 16, v2
	s_branch .LBB14_614
.LBB14_610:
	s_mov_b32 s21, -1
                                        ; implicit-def: $vgpr2
	s_branch .LBB14_615
.LBB14_611:
	s_or_saveexec_b32 s21, s21
	v_mov_b32_e32 v2, 0x7f800001
	s_xor_b32 exec_lo, exec_lo, s21
	s_cbranch_execz .LBB14_592
.LBB14_612:
	v_cmp_ne_u16_e32 vcc_lo, 0, v3
	v_mov_b32_e32 v2, 0
	s_andn2_b32 s1, s1, exec_lo
	s_and_b32 s22, vcc_lo, exec_lo
	s_or_b32 s1, s1, s22
	s_or_b32 exec_lo, exec_lo, s21
	s_and_saveexec_b32 s21, s1
	s_cbranch_execnz .LBB14_593
	s_branch .LBB14_594
.LBB14_613:
	s_mov_b32 s20, -1
                                        ; implicit-def: $vgpr2
.LBB14_614:
	s_mov_b32 s21, 0
.LBB14_615:
	s_and_b32 vcc_lo, exec_lo, s21
	s_cbranch_vccz .LBB14_619
; %bb.616:
	s_cmp_eq_u32 s0, 11
	s_cbranch_scc0 .LBB14_618
; %bb.617:
	global_load_ubyte v2, v[0:1], off
	s_mov_b32 s20, 0
	s_mov_b32 s1, -1
	s_waitcnt vmcnt(0)
	v_cmp_ne_u16_e32 vcc_lo, 0, v2
	v_cndmask_b32_e64 v2, 0, 1.0, vcc_lo
	s_branch .LBB14_619
.LBB14_618:
	s_mov_b32 s20, -1
                                        ; implicit-def: $vgpr2
.LBB14_619:
	s_mov_b32 s21, 0
.LBB14_620:
	s_and_b32 vcc_lo, exec_lo, s21
	s_cbranch_vccz .LBB14_669
; %bb.621:
	s_cmp_lt_i32 s0, 5
	s_cbranch_scc1 .LBB14_626
; %bb.622:
	s_cmp_lt_i32 s0, 8
	s_cbranch_scc1 .LBB14_627
	;; [unrolled: 3-line block ×3, first 2 shown]
; %bb.624:
	s_cmp_gt_i32 s0, 9
	s_cbranch_scc0 .LBB14_629
; %bb.625:
	global_load_dwordx2 v[2:3], v[0:1], off
	s_mov_b32 s1, 0
	s_waitcnt vmcnt(0)
	v_cvt_f32_f64_e32 v2, v[2:3]
	s_branch .LBB14_630
.LBB14_626:
	s_mov_b32 s1, -1
                                        ; implicit-def: $vgpr2
	s_branch .LBB14_648
.LBB14_627:
	s_mov_b32 s1, -1
                                        ; implicit-def: $vgpr2
	s_branch .LBB14_636
.LBB14_628:
	s_mov_b32 s1, -1
                                        ; implicit-def: $vgpr2
	s_branch .LBB14_633
.LBB14_629:
	s_mov_b32 s1, -1
                                        ; implicit-def: $vgpr2
.LBB14_630:
	s_andn2_b32 vcc_lo, exec_lo, s1
	s_cbranch_vccnz .LBB14_632
; %bb.631:
	global_load_dword v2, v[0:1], off
.LBB14_632:
	s_mov_b32 s1, 0
.LBB14_633:
	s_andn2_b32 vcc_lo, exec_lo, s1
	s_cbranch_vccnz .LBB14_635
; %bb.634:
	global_load_dword v2, v[0:1], off
	s_waitcnt vmcnt(0)
	v_cvt_f32_f16_e32 v2, v2
.LBB14_635:
	s_mov_b32 s1, 0
.LBB14_636:
	s_andn2_b32 vcc_lo, exec_lo, s1
	s_cbranch_vccnz .LBB14_647
; %bb.637:
	s_cmp_lt_i32 s0, 6
	s_cbranch_scc1 .LBB14_640
; %bb.638:
	s_cmp_gt_i32 s0, 6
	s_cbranch_scc0 .LBB14_641
; %bb.639:
	global_load_dwordx2 v[2:3], v[0:1], off
	s_mov_b32 s1, 0
	s_waitcnt vmcnt(0)
	v_cvt_f32_f64_e32 v2, v[2:3]
	s_branch .LBB14_642
.LBB14_640:
	s_mov_b32 s1, -1
                                        ; implicit-def: $vgpr2
	s_branch .LBB14_645
.LBB14_641:
	s_mov_b32 s1, -1
                                        ; implicit-def: $vgpr2
.LBB14_642:
	s_andn2_b32 vcc_lo, exec_lo, s1
	s_cbranch_vccnz .LBB14_644
; %bb.643:
	global_load_dword v2, v[0:1], off
.LBB14_644:
	s_mov_b32 s1, 0
.LBB14_645:
	s_andn2_b32 vcc_lo, exec_lo, s1
	s_cbranch_vccnz .LBB14_647
; %bb.646:
	global_load_ushort v2, v[0:1], off
	s_waitcnt vmcnt(0)
	v_cvt_f32_f16_e32 v2, v2
.LBB14_647:
	s_mov_b32 s1, 0
.LBB14_648:
	s_andn2_b32 vcc_lo, exec_lo, s1
	s_cbranch_vccnz .LBB14_668
; %bb.649:
	s_cmp_lt_i32 s0, 2
	s_cbranch_scc1 .LBB14_653
; %bb.650:
	s_cmp_lt_i32 s0, 3
	s_cbranch_scc1 .LBB14_654
; %bb.651:
	s_cmp_gt_i32 s0, 3
	s_cbranch_scc0 .LBB14_655
; %bb.652:
	global_load_dwordx2 v[2:3], v[0:1], off
	s_mov_b32 s1, 0
	s_waitcnt vmcnt(0)
	v_xor_b32_e32 v4, v2, v3
	v_ffbh_i32_e32 v5, v3
	v_ashrrev_i32_e32 v4, 31, v4
	v_add_nc_u32_e32 v5, -1, v5
	v_add_nc_u32_e32 v4, 32, v4
	v_min_u32_e32 v4, v5, v4
	v_lshlrev_b64 v[2:3], v4, v[2:3]
	v_min_u32_e32 v2, 1, v2
	v_or_b32_e32 v2, v3, v2
	v_sub_nc_u32_e32 v3, 32, v4
	v_cvt_f32_i32_e32 v2, v2
	v_ldexp_f32 v2, v2, v3
	s_branch .LBB14_656
.LBB14_653:
	s_mov_b32 s1, -1
                                        ; implicit-def: $vgpr2
	s_branch .LBB14_662
.LBB14_654:
	s_mov_b32 s1, -1
                                        ; implicit-def: $vgpr2
	s_branch .LBB14_659
.LBB14_655:
	s_mov_b32 s1, -1
                                        ; implicit-def: $vgpr2
.LBB14_656:
	s_andn2_b32 vcc_lo, exec_lo, s1
	s_cbranch_vccnz .LBB14_658
; %bb.657:
	global_load_dword v2, v[0:1], off
	s_waitcnt vmcnt(0)
	v_cvt_f32_i32_e32 v2, v2
.LBB14_658:
	s_mov_b32 s1, 0
.LBB14_659:
	s_andn2_b32 vcc_lo, exec_lo, s1
	s_cbranch_vccnz .LBB14_661
; %bb.660:
	global_load_sshort v2, v[0:1], off
	s_waitcnt vmcnt(0)
	v_cvt_f32_i32_e32 v2, v2
.LBB14_661:
	s_mov_b32 s1, 0
.LBB14_662:
	s_andn2_b32 vcc_lo, exec_lo, s1
	s_cbranch_vccnz .LBB14_668
; %bb.663:
	s_cmp_gt_i32 s0, 0
	s_mov_b32 s0, 0
	s_cbranch_scc0 .LBB14_665
; %bb.664:
	global_load_sbyte v2, v[0:1], off
	s_waitcnt vmcnt(0)
	v_cvt_f32_i32_e32 v2, v2
	s_branch .LBB14_666
.LBB14_665:
	s_mov_b32 s0, -1
                                        ; implicit-def: $vgpr2
.LBB14_666:
	s_andn2_b32 vcc_lo, exec_lo, s0
	s_cbranch_vccnz .LBB14_668
; %bb.667:
	global_load_ubyte v0, v[0:1], off
	s_waitcnt vmcnt(0)
	v_cvt_f32_ubyte0_e32 v2, v0
.LBB14_668:
	s_mov_b32 s1, -1
.LBB14_669:
	s_andn2_b32 vcc_lo, exec_lo, s1
	s_cbranch_vccnz .LBB14_687
; %bb.670:
	v_mov_b32_e32 v0, 0
	s_mov_b32 s21, exec_lo
	s_waitcnt vmcnt(0)
	v_cmpx_neq_f32_e64 0x7f800000, |v2|
	s_cbranch_execz .LBB14_680
; %bb.671:
                                        ; implicit-def: $vgpr0
	s_mov_b32 s1, exec_lo
	v_cmpx_nlt_f32_e64 |v2|, 0.5
	s_xor_b32 s22, exec_lo, s1
	s_cbranch_execz .LBB14_677
; %bb.672:
	v_and_b32_e32 v0, 0x7fffffff, v2
                                        ; implicit-def: $vgpr3
                                        ; implicit-def: $vgpr1
	s_mov_b32 s1, exec_lo
	v_cmpx_ngt_f32_e64 0x48000000, |v2|
	s_xor_b32 s23, exec_lo, s1
	s_cbranch_execz .LBB14_674
; %bb.673:
	s_mov_b32 s0, 0x7fffff
	v_mov_b32_e32 v5, 0
	v_and_or_b32 v1, v0, s0, 0x800000
	v_lshrrev_b32_e32 v6, 23, v0
	v_mad_u64_u32 v[3:4], null, 0xfe5163ab, v1, 0
	v_add_nc_u32_e32 v6, 0xffffff88, v6
	v_cmp_lt_u32_e32 vcc_lo, 63, v6
	v_mad_u64_u32 v[8:9], null, 0x3c439041, v1, v[4:5]
	v_cndmask_b32_e64 v13, 0, 0xffffffc0, vcc_lo
	v_mov_b32_e32 v4, v9
	v_add_nc_u32_e32 v6, v13, v6
	v_mad_u64_u32 v[9:10], null, 0xdb629599, v1, v[4:5]
	v_cmp_lt_u32_e64 s0, 31, v6
	v_cndmask_b32_e64 v14, 0, 0xffffffe0, s0
	v_mov_b32_e32 v4, v10
	v_cndmask_b32_e32 v3, v9, v3, vcc_lo
	v_add_nc_u32_e32 v6, v14, v6
	v_mad_u64_u32 v[10:11], null, 0xf534ddc0, v1, v[4:5]
	v_cmp_lt_u32_e64 s1, 31, v6
	v_mov_b32_e32 v4, v11
	v_mad_u64_u32 v[11:12], null, 0xfc2757d1, v1, v[4:5]
	v_mov_b32_e32 v4, v12
	v_mad_u64_u32 v[12:13], null, 0x4e441529, v1, v[4:5]
	v_mov_b32_e32 v4, v13
	v_cndmask_b32_e32 v13, v12, v10, vcc_lo
	v_mad_u64_u32 v[4:5], null, 0xa2f9836e, v1, v[4:5]
	v_cndmask_b32_e64 v1, 0, 0xffffffe0, s1
	v_add_nc_u32_e32 v1, v1, v6
	v_cndmask_b32_e32 v4, v4, v11, vcc_lo
	v_cndmask_b32_e32 v5, v5, v12, vcc_lo
	;; [unrolled: 1-line block ×4, first 2 shown]
	v_sub_nc_u32_e32 v10, 32, v1
	v_cndmask_b32_e64 v8, v4, v13, s0
	v_cndmask_b32_e64 v4, v5, v4, s0
	;; [unrolled: 1-line block ×4, first 2 shown]
	v_cmp_eq_u32_e32 vcc_lo, 0, v1
	v_cndmask_b32_e64 v3, v6, v3, s0
	v_cndmask_b32_e64 v4, v4, v8, s1
	;; [unrolled: 1-line block ×5, first 2 shown]
	v_alignbit_b32 v12, v4, v8, v10
	v_alignbit_b32 v9, v8, v5, v10
	;; [unrolled: 1-line block ×3, first 2 shown]
	v_cndmask_b32_e32 v1, v12, v4, vcc_lo
	v_cndmask_b32_e32 v4, v9, v8, vcc_lo
	;; [unrolled: 1-line block ×3, first 2 shown]
	v_bfe_u32 v6, v1, 29, 1
	v_alignbit_b32 v8, v1, v4, 30
	v_alignbit_b32 v4, v4, v5, 30
	;; [unrolled: 1-line block ×3, first 2 shown]
	v_sub_nc_u32_e32 v9, 0, v6
	v_xor_b32_e32 v8, v8, v9
	v_xor_b32_e32 v4, v4, v9
	;; [unrolled: 1-line block ×3, first 2 shown]
	v_lshrrev_b32_e32 v9, 29, v1
	v_ffbh_u32_e32 v10, v8
	v_min_u32_e32 v10, 32, v10
	v_sub_nc_u32_e32 v5, 31, v10
	v_lshlrev_b32_e32 v11, 23, v10
	v_alignbit_b32 v8, v8, v4, v5
	v_alignbit_b32 v3, v4, v3, v5
	v_lshlrev_b32_e32 v4, 31, v9
	v_alignbit_b32 v5, v8, v3, 9
	v_or_b32_e32 v9, 0.5, v4
	v_lshrrev_b32_e32 v8, 9, v8
	v_or_b32_e32 v4, 0x33000000, v4
	v_ffbh_u32_e32 v12, v5
	v_sub_nc_u32_e32 v9, v9, v11
	v_min_u32_e32 v11, 32, v12
	v_or_b32_e32 v8, v8, v9
	v_not_b32_e32 v9, v11
	v_mul_f32_e32 v12, 0x3fc90fda, v8
	v_add_lshl_u32 v10, v11, v10, 23
	v_alignbit_b32 v3, v5, v3, v9
	v_fma_f32 v5, 0x3fc90fda, v8, -v12
	v_sub_nc_u32_e32 v4, v4, v10
	v_lshrrev_b32_e32 v3, 9, v3
	v_fmamk_f32 v5, v8, 0x33a22168, v5
	v_or_b32_e32 v3, v4, v3
	v_fmac_f32_e32 v5, 0x3fc90fda, v3
	v_lshrrev_b32_e32 v3, 30, v1
	v_add_f32_e32 v1, v12, v5
	v_add_nc_u32_e32 v3, v6, v3
.LBB14_674:
	s_andn2_saveexec_b32 s0, s23
; %bb.675:
	v_mul_f32_e64 v1, 0x3f22f983, |v2|
	v_rndne_f32_e32 v3, v1
	v_fma_f32 v1, 0xbfc90fda, v3, |v2|
	v_fmamk_f32 v1, v3, 0xb3a22168, v1
	v_fmamk_f32 v1, v3, 0xa7c234c4, v1
	v_cvt_i32_f32_e32 v3, v3
; %bb.676:
	s_or_b32 exec_lo, exec_lo, s0
	v_mul_f32_e32 v4, v1, v1
	s_mov_b32 s0, 0xb94c1982
	s_mov_b32 s1, 0x37d75334
	v_and_b32_e32 v8, 1, v3
	v_lshlrev_b32_e32 v3, 30, v3
	v_fmaak_f32 v5, s0, v4, 0x3c0881c4
	v_fmaak_f32 v6, s1, v4, 0xbab64f3b
	v_xor_b32_e32 v0, v0, v2
	v_cmp_eq_u32_e32 vcc_lo, 0, v8
	v_and_b32_e32 v3, 0x80000000, v3
	v_fmaak_f32 v5, v4, v5, 0xbe2aaa9d
	v_fmaak_f32 v6, v4, v6, 0x3d2aabf7
	v_mul_f32_e32 v5, v4, v5
	v_fmaak_f32 v6, v4, v6, 0xbf000004
	v_fmac_f32_e32 v1, v1, v5
	v_fma_f32 v4, v4, v6, 1.0
	v_cndmask_b32_e32 v1, v4, v1, vcc_lo
	v_cmp_class_f32_e64 vcc_lo, v2, 0x1f8
	v_xor3_b32 v0, v0, v3, v1
	v_cndmask_b32_e32 v0, 0x7fc00000, v0, vcc_lo
	v_div_scale_f32 v1, null, v2, v2, v0
	v_rcp_f32_e32 v3, v1
	v_fma_f32 v4, -v1, v3, 1.0
	v_fmac_f32_e32 v3, v4, v3
	v_div_scale_f32 v4, vcc_lo, v0, v2, v0
	v_mul_f32_e32 v5, v4, v3
	v_fma_f32 v6, -v1, v5, v4
	v_fmac_f32_e32 v5, v6, v3
	v_fma_f32 v1, -v1, v5, v4
	v_div_fmas_f32 v1, v1, v3, v5
	v_div_fixup_f32 v0, v1, v2, v0
                                        ; implicit-def: $vgpr2
.LBB14_677:
	s_andn2_saveexec_b32 s0, s22
	s_cbranch_execz .LBB14_679
; %bb.678:
	v_mul_f32_e32 v0, v2, v2
	s_mov_b32 s1, 0x2f309231
	v_fmaak_f32 v1, s1, v0, 0xb2d7322b
	v_fmaak_f32 v1, v0, v1, 0x3638ef1d
	;; [unrolled: 1-line block ×5, first 2 shown]
	v_fma_f32 v0, v0, v1, 1.0
.LBB14_679:
	s_or_b32 exec_lo, exec_lo, s0
.LBB14_680:
	s_or_b32 exec_lo, exec_lo, s21
	v_mul_lo_u32 v1, v7, s2
	s_and_b32 s1, s4, 0xff
	s_cmp_lt_i32 s1, 11
	v_ashrrev_i32_e32 v3, 31, v1
	v_add_co_u32 v2, vcc_lo, s8, v1
	v_add_co_ci_u32_e64 v3, null, s9, v3, vcc_lo
	s_cbranch_scc1 .LBB14_688
; %bb.681:
	s_and_b32 s21, 0xffff, s1
	s_cmp_gt_i32 s21, 25
	s_cbranch_scc0 .LBB14_689
; %bb.682:
	s_cmp_gt_i32 s21, 28
	s_cbranch_scc0 .LBB14_690
; %bb.683:
	;; [unrolled: 3-line block ×4, first 2 shown]
	s_mov_b32 s23, 0
	s_mov_b32 s0, -1
	s_cmp_eq_u32 s21, 46
	s_mov_b32 s22, 0
	s_cbranch_scc0 .LBB14_693
; %bb.686:
	v_bfe_u32 v1, v0, 16, 1
	v_cmp_o_f32_e32 vcc_lo, v0, v0
	v_mov_b32_e32 v4, 0x7fc0
	s_mov_b32 s22, -1
	s_mov_b32 s0, 0
	v_add3_u32 v1, v0, v1, 0x7fff
	v_cndmask_b32_sdwa v1, v4, v1, vcc_lo dst_sel:DWORD dst_unused:UNUSED_PAD src0_sel:DWORD src1_sel:WORD_1
	global_store_dword v[2:3], v1, off
	s_branch .LBB14_693
.LBB14_687:
	s_mov_b32 s21, 0
	s_mov_b32 s0, s17
	s_branch .LBB14_804
.LBB14_688:
	s_mov_b32 s21, -1
	s_mov_b32 s22, 0
	s_mov_b32 s0, s17
	s_branch .LBB14_762
.LBB14_689:
	s_mov_b32 s23, -1
	s_mov_b32 s22, 0
	s_mov_b32 s0, s17
	s_branch .LBB14_720
.LBB14_690:
	s_mov_b32 s23, -1
	s_mov_b32 s22, 0
	s_mov_b32 s0, s17
	s_branch .LBB14_703
.LBB14_691:
	s_mov_b32 s23, -1
	s_mov_b32 s22, 0
	s_mov_b32 s0, s17
	s_branch .LBB14_699
.LBB14_692:
	s_mov_b32 s23, -1
	s_mov_b32 s22, 0
	s_mov_b32 s0, s17
.LBB14_693:
	s_and_b32 vcc_lo, exec_lo, s23
	s_cbranch_vccz .LBB14_698
; %bb.694:
	s_cmp_eq_u32 s21, 44
	s_mov_b32 s0, -1
	s_cbranch_scc0 .LBB14_698
; %bb.695:
	v_bfe_u32 v4, v0, 23, 8
	v_mov_b32_e32 v1, 0xff
	s_mov_b32 s22, exec_lo
	v_cmpx_ne_u32_e32 0xff, v4
	s_cbranch_execz .LBB14_697
; %bb.696:
	v_and_b32_e32 v1, 0x400000, v0
	v_and_or_b32 v4, 0x3fffff, v0, v4
	v_cmp_ne_u32_e32 vcc_lo, 0, v1
	v_cmp_ne_u32_e64 s0, 0, v4
	v_lshrrev_b32_e32 v1, 23, v0
	s_and_b32 s0, vcc_lo, s0
	v_cndmask_b32_e64 v4, 0, 1, s0
	v_add_nc_u32_e32 v1, v1, v4
.LBB14_697:
	s_or_b32 exec_lo, exec_lo, s22
	s_mov_b32 s22, -1
	s_mov_b32 s0, 0
	global_store_byte v[2:3], v1, off
.LBB14_698:
	s_mov_b32 s23, 0
.LBB14_699:
	s_and_b32 vcc_lo, exec_lo, s23
	s_cbranch_vccz .LBB14_702
; %bb.700:
	s_cmp_eq_u32 s21, 29
	s_mov_b32 s0, -1
	s_cbranch_scc0 .LBB14_702
; %bb.701:
	v_trunc_f32_e32 v1, v0
	s_mov_b32 s22, -1
	s_mov_b32 s0, 0
	s_mov_b32 s23, 0
	v_mul_f32_e32 v4, 0x2f800000, v1
	v_floor_f32_e32 v4, v4
	v_fmamk_f32 v1, v4, 0xcf800000, v1
	v_cvt_u32_f32_e32 v5, v4
	v_cvt_u32_f32_e32 v4, v1
	global_store_dwordx2 v[2:3], v[4:5], off
	s_branch .LBB14_703
.LBB14_702:
	s_mov_b32 s23, 0
.LBB14_703:
	s_and_b32 vcc_lo, exec_lo, s23
	s_cbranch_vccz .LBB14_719
; %bb.704:
	s_cmp_lt_i32 s21, 27
	s_mov_b32 s22, -1
	s_cbranch_scc1 .LBB14_710
; %bb.705:
	v_cvt_u32_f32_e32 v1, v0
	s_cmp_gt_i32 s21, 27
	s_cbranch_scc0 .LBB14_707
; %bb.706:
	s_mov_b32 s22, 0
	global_store_dword v[2:3], v1, off
.LBB14_707:
	s_andn2_b32 vcc_lo, exec_lo, s22
	s_cbranch_vccnz .LBB14_709
; %bb.708:
	global_store_short v[2:3], v1, off
.LBB14_709:
	s_mov_b32 s22, 0
.LBB14_710:
	s_andn2_b32 vcc_lo, exec_lo, s22
	s_cbranch_vccnz .LBB14_718
; %bb.711:
	v_and_b32_e32 v1, 0x7fffffff, v0
	v_mov_b32_e32 v4, 0x80
	s_mov_b32 s22, exec_lo
	v_cmpx_gt_u32_e32 0x43800000, v1
	s_cbranch_execz .LBB14_717
; %bb.712:
	v_cmp_lt_u32_e32 vcc_lo, 0x3bffffff, v1
	s_mov_b32 s23, 0
                                        ; implicit-def: $vgpr1
	s_and_saveexec_b32 s24, vcc_lo
	s_xor_b32 s24, exec_lo, s24
	s_cbranch_execz .LBB14_819
; %bb.713:
	v_bfe_u32 v1, v0, 20, 1
	s_mov_b32 s23, exec_lo
	v_add3_u32 v1, v0, v1, 0x487ffff
	v_lshrrev_b32_e32 v1, 20, v1
	s_andn2_saveexec_b32 s24, s24
	s_cbranch_execnz .LBB14_820
.LBB14_714:
	s_or_b32 exec_lo, exec_lo, s24
	v_mov_b32_e32 v4, 0
	s_and_saveexec_b32 s24, s23
.LBB14_715:
	v_lshrrev_b32_e32 v4, 24, v0
	v_and_or_b32 v4, 0x80, v4, v1
.LBB14_716:
	s_or_b32 exec_lo, exec_lo, s24
.LBB14_717:
	s_or_b32 exec_lo, exec_lo, s22
	global_store_byte v[2:3], v4, off
.LBB14_718:
	s_mov_b32 s22, -1
.LBB14_719:
	s_mov_b32 s23, 0
.LBB14_720:
	s_and_b32 vcc_lo, exec_lo, s23
	s_cbranch_vccz .LBB14_761
; %bb.721:
	s_cmp_gt_i32 s21, 22
	s_mov_b32 s23, -1
	s_cbranch_scc0 .LBB14_753
; %bb.722:
	s_cmp_lt_i32 s21, 24
	s_mov_b32 s22, -1
	s_cbranch_scc1 .LBB14_742
; %bb.723:
	s_cmp_gt_i32 s21, 24
	s_cbranch_scc0 .LBB14_731
; %bb.724:
	v_and_b32_e32 v1, 0x7fffffff, v0
	v_mov_b32_e32 v4, 0x80
	s_mov_b32 s22, exec_lo
	v_cmpx_gt_u32_e32 0x47800000, v1
	s_cbranch_execz .LBB14_730
; %bb.725:
	v_cmp_lt_u32_e32 vcc_lo, 0x37ffffff, v1
	s_mov_b32 s23, 0
                                        ; implicit-def: $vgpr1
	s_and_saveexec_b32 s24, vcc_lo
	s_xor_b32 s24, exec_lo, s24
	s_cbranch_execz .LBB14_822
; %bb.726:
	v_bfe_u32 v1, v0, 21, 1
	s_mov_b32 s23, exec_lo
	v_add3_u32 v1, v0, v1, 0x88fffff
	v_lshrrev_b32_e32 v1, 21, v1
	s_andn2_saveexec_b32 s24, s24
	s_cbranch_execnz .LBB14_823
.LBB14_727:
	s_or_b32 exec_lo, exec_lo, s24
	v_mov_b32_e32 v4, 0
	s_and_saveexec_b32 s24, s23
.LBB14_728:
	v_lshrrev_b32_e32 v4, 24, v0
	v_and_or_b32 v4, 0x80, v4, v1
.LBB14_729:
	s_or_b32 exec_lo, exec_lo, s24
.LBB14_730:
	s_or_b32 exec_lo, exec_lo, s22
	s_mov_b32 s22, 0
	global_store_byte v[2:3], v4, off
.LBB14_731:
	s_and_b32 vcc_lo, exec_lo, s22
	s_cbranch_vccz .LBB14_741
; %bb.732:
	v_and_b32_e32 v4, 0x7fffffff, v0
	s_mov_b32 s22, exec_lo
                                        ; implicit-def: $vgpr1
	v_cmpx_gt_u32_e32 0x43f00000, v4
	s_xor_b32 s22, exec_lo, s22
	s_cbranch_execz .LBB14_738
; %bb.733:
	s_mov_b32 s23, exec_lo
                                        ; implicit-def: $vgpr1
	v_cmpx_lt_u32_e32 0x3c7fffff, v4
	s_xor_b32 s23, exec_lo, s23
; %bb.734:
	v_bfe_u32 v1, v0, 20, 1
	v_add3_u32 v1, v0, v1, 0x407ffff
	v_and_b32_e32 v4, 0xff00000, v1
	v_lshrrev_b32_e32 v1, 20, v1
	v_cmp_ne_u32_e32 vcc_lo, 0x7f00000, v4
	v_cndmask_b32_e32 v1, 0x7e, v1, vcc_lo
; %bb.735:
	s_andn2_saveexec_b32 s23, s23
; %bb.736:
	v_add_f32_e64 v1, 0x46800000, |v0|
; %bb.737:
	s_or_b32 exec_lo, exec_lo, s23
                                        ; implicit-def: $vgpr4
.LBB14_738:
	s_andn2_saveexec_b32 s22, s22
; %bb.739:
	v_mov_b32_e32 v1, 0x7f
	v_cmp_lt_u32_e32 vcc_lo, 0x7f800000, v4
	v_cndmask_b32_e32 v1, 0x7e, v1, vcc_lo
; %bb.740:
	s_or_b32 exec_lo, exec_lo, s22
	v_lshrrev_b32_e32 v4, 24, v0
	v_and_or_b32 v1, 0x80, v4, v1
	global_store_byte v[2:3], v1, off
.LBB14_741:
	s_mov_b32 s22, 0
.LBB14_742:
	s_andn2_b32 vcc_lo, exec_lo, s22
	s_cbranch_vccnz .LBB14_752
; %bb.743:
	v_and_b32_e32 v4, 0x7fffffff, v0
	s_mov_b32 s22, exec_lo
                                        ; implicit-def: $vgpr1
	v_cmpx_gt_u32_e32 0x47800000, v4
	s_xor_b32 s22, exec_lo, s22
	s_cbranch_execz .LBB14_749
; %bb.744:
	s_mov_b32 s23, exec_lo
                                        ; implicit-def: $vgpr1
	v_cmpx_lt_u32_e32 0x387fffff, v4
	s_xor_b32 s23, exec_lo, s23
; %bb.745:
	v_bfe_u32 v1, v0, 21, 1
	v_add3_u32 v1, v0, v1, 0x80fffff
	v_lshrrev_b32_e32 v1, 21, v1
; %bb.746:
	s_andn2_saveexec_b32 s23, s23
; %bb.747:
	v_add_f32_e64 v1, 0x43000000, |v0|
; %bb.748:
	s_or_b32 exec_lo, exec_lo, s23
                                        ; implicit-def: $vgpr4
.LBB14_749:
	s_andn2_saveexec_b32 s22, s22
; %bb.750:
	v_mov_b32_e32 v1, 0x7f
	v_cmp_lt_u32_e32 vcc_lo, 0x7f800000, v4
	v_cndmask_b32_e32 v1, 0x7c, v1, vcc_lo
; %bb.751:
	s_or_b32 exec_lo, exec_lo, s22
	v_lshrrev_b32_e32 v4, 24, v0
	v_and_or_b32 v1, 0x80, v4, v1
	global_store_byte v[2:3], v1, off
.LBB14_752:
	s_mov_b32 s23, 0
	s_mov_b32 s22, -1
.LBB14_753:
	s_andn2_b32 vcc_lo, exec_lo, s23
	s_cbranch_vccnz .LBB14_761
; %bb.754:
	s_cmp_gt_i32 s21, 14
	s_mov_b32 s23, -1
	s_cbranch_scc0 .LBB14_758
; %bb.755:
	s_cmp_eq_u32 s21, 15
	s_mov_b32 s0, -1
	s_cbranch_scc0 .LBB14_757
; %bb.756:
	v_bfe_u32 v1, v0, 16, 1
	v_cmp_o_f32_e32 vcc_lo, v0, v0
	v_mov_b32_e32 v4, 0x7fc0
	s_mov_b32 s22, -1
	s_mov_b32 s0, 0
	v_add3_u32 v1, v0, v1, 0x7fff
	v_cndmask_b32_sdwa v1, v4, v1, vcc_lo dst_sel:DWORD dst_unused:UNUSED_PAD src0_sel:DWORD src1_sel:WORD_1
	global_store_short v[2:3], v1, off
.LBB14_757:
	s_mov_b32 s23, 0
.LBB14_758:
	s_and_b32 vcc_lo, exec_lo, s23
	s_cbranch_vccz .LBB14_761
; %bb.759:
	s_cmp_eq_u32 s21, 11
	s_mov_b32 s0, -1
	s_cbranch_scc0 .LBB14_761
; %bb.760:
	v_cmp_neq_f32_e32 vcc_lo, 0, v0
	s_mov_b32 s0, 0
	s_mov_b32 s22, -1
	v_cndmask_b32_e64 v1, 0, 1, vcc_lo
	global_store_byte v[2:3], v1, off
.LBB14_761:
	s_mov_b32 s21, 0
.LBB14_762:
	s_and_b32 vcc_lo, exec_lo, s21
	s_cbranch_vccz .LBB14_801
; %bb.763:
	s_and_b32 s1, 0xffff, s1
	s_mov_b32 s21, -1
	s_cmp_lt_i32 s1, 5
	s_cbranch_scc1 .LBB14_784
; %bb.764:
	s_cmp_lt_i32 s1, 8
	s_cbranch_scc1 .LBB14_774
; %bb.765:
	;; [unrolled: 3-line block ×3, first 2 shown]
	s_cmp_gt_i32 s1, 9
	s_cbranch_scc0 .LBB14_768
; %bb.767:
	v_cvt_f64_f32_e32 v[8:9], v0
	v_mov_b32_e32 v10, 0
	s_mov_b32 s21, 0
	v_mov_b32_e32 v11, v10
	global_store_dwordx4 v[2:3], v[8:11], off
.LBB14_768:
	s_andn2_b32 vcc_lo, exec_lo, s21
	s_cbranch_vccnz .LBB14_770
; %bb.769:
	v_mov_b32_e32 v1, 0
	global_store_dwordx2 v[2:3], v[0:1], off
.LBB14_770:
	s_mov_b32 s21, 0
.LBB14_771:
	s_andn2_b32 vcc_lo, exec_lo, s21
	s_cbranch_vccnz .LBB14_773
; %bb.772:
	v_cvt_f16_f32_e32 v1, v0
	v_and_b32_e32 v1, 0xffff, v1
	global_store_dword v[2:3], v1, off
.LBB14_773:
	s_mov_b32 s21, 0
.LBB14_774:
	s_andn2_b32 vcc_lo, exec_lo, s21
	s_cbranch_vccnz .LBB14_783
; %bb.775:
	s_cmp_lt_i32 s1, 6
	s_mov_b32 s21, -1
	s_cbranch_scc1 .LBB14_781
; %bb.776:
	s_cmp_gt_i32 s1, 6
	s_cbranch_scc0 .LBB14_778
; %bb.777:
	v_cvt_f64_f32_e32 v[4:5], v0
	s_mov_b32 s21, 0
	global_store_dwordx2 v[2:3], v[4:5], off
.LBB14_778:
	s_andn2_b32 vcc_lo, exec_lo, s21
	s_cbranch_vccnz .LBB14_780
; %bb.779:
	global_store_dword v[2:3], v0, off
.LBB14_780:
	s_mov_b32 s21, 0
.LBB14_781:
	s_andn2_b32 vcc_lo, exec_lo, s21
	s_cbranch_vccnz .LBB14_783
; %bb.782:
	v_cvt_f16_f32_e32 v1, v0
	global_store_short v[2:3], v1, off
.LBB14_783:
	s_mov_b32 s21, 0
.LBB14_784:
	s_andn2_b32 vcc_lo, exec_lo, s21
	s_cbranch_vccnz .LBB14_800
; %bb.785:
	s_cmp_lt_i32 s1, 2
	s_mov_b32 s21, -1
	s_cbranch_scc1 .LBB14_795
; %bb.786:
	s_cmp_lt_i32 s1, 3
	s_cbranch_scc1 .LBB14_792
; %bb.787:
	s_cmp_gt_i32 s1, 3
	s_cbranch_scc0 .LBB14_789
; %bb.788:
	v_trunc_f32_e32 v1, v0
	s_mov_b32 s21, 0
	v_mul_f32_e64 v4, 0x2f800000, |v1|
	v_floor_f32_e32 v4, v4
	v_fma_f32 v5, 0xcf800000, v4, |v1|
	v_ashrrev_i32_e32 v1, 31, v1
	v_cvt_u32_f32_e32 v4, v4
	v_cvt_u32_f32_e32 v5, v5
	v_xor_b32_e32 v6, v4, v1
	v_xor_b32_e32 v5, v5, v1
	v_sub_co_u32 v4, vcc_lo, v5, v1
	v_sub_co_ci_u32_e64 v5, null, v6, v1, vcc_lo
	global_store_dwordx2 v[2:3], v[4:5], off
.LBB14_789:
	s_andn2_b32 vcc_lo, exec_lo, s21
	s_cbranch_vccnz .LBB14_791
; %bb.790:
	v_cvt_i32_f32_e32 v1, v0
	global_store_dword v[2:3], v1, off
.LBB14_791:
	s_mov_b32 s21, 0
.LBB14_792:
	s_andn2_b32 vcc_lo, exec_lo, s21
	s_cbranch_vccnz .LBB14_794
; %bb.793:
	v_cvt_i32_f32_e32 v1, v0
	global_store_short v[2:3], v1, off
.LBB14_794:
	s_mov_b32 s21, 0
.LBB14_795:
	s_andn2_b32 vcc_lo, exec_lo, s21
	s_cbranch_vccnz .LBB14_800
; %bb.796:
	s_cmp_gt_i32 s1, 0
	s_mov_b32 s1, -1
	s_cbranch_scc0 .LBB14_798
; %bb.797:
	v_cvt_i32_f32_e32 v1, v0
	s_mov_b32 s1, 0
	global_store_byte v[2:3], v1, off
.LBB14_798:
	s_andn2_b32 vcc_lo, exec_lo, s1
	s_cbranch_vccnz .LBB14_800
; %bb.799:
	v_trunc_f32_e32 v0, v0
	v_mul_f32_e64 v1, 0x2f800000, |v0|
	v_floor_f32_e32 v1, v1
	v_fma_f32 v1, 0xcf800000, v1, |v0|
	v_ashrrev_i32_e32 v0, 31, v0
	v_cvt_u32_f32_e32 v1, v1
	v_xor_b32_e32 v1, v1, v0
	v_sub_nc_u32_e32 v0, v1, v0
	global_store_byte v[2:3], v0, off
.LBB14_800:
	s_mov_b32 s22, -1
.LBB14_801:
	s_andn2_b32 vcc_lo, exec_lo, s22
	s_cbranch_vccnz .LBB14_803
; %bb.802:
	v_add_nc_u32_e32 v7, 0x80, v7
	s_mov_b32 s21, -1
	s_branch .LBB14_805
.LBB14_803:
	s_mov_b32 s21, 0
.LBB14_804:
                                        ; implicit-def: $vgpr7
.LBB14_805:
	s_andn2_b32 s1, s17, exec_lo
	s_and_b32 s0, s0, exec_lo
	s_andn2_b32 s22, s16, exec_lo
	s_and_b32 s20, s20, exec_lo
	s_or_b32 s1, s1, s0
	s_or_b32 s0, s22, s20
	s_orn2_b32 s20, s21, exec_lo
.LBB14_806:
	s_or_b32 exec_lo, exec_lo, s19
	s_mov_b32 s21, 0
	s_mov_b32 s22, 0
	s_mov_b32 s23, 0
                                        ; implicit-def: $vgpr0_vgpr1
                                        ; implicit-def: $vgpr4
	s_and_saveexec_b32 s19, s20
	s_cbranch_execz .LBB14_891
; %bb.807:
	v_cmp_gt_i32_e32 vcc_lo, s13, v7
	s_mov_b32 s20, 0
	s_mov_b32 s21, s0
	;; [unrolled: 1-line block ×3, first 2 shown]
                                        ; implicit-def: $vgpr0_vgpr1
                                        ; implicit-def: $vgpr4
	s_and_saveexec_b32 s13, vcc_lo
	s_cbranch_execz .LBB14_890
; %bb.808:
	v_mul_lo_u32 v0, v7, s3
	s_and_b32 s20, 0xffff, s6
	s_cmp_lt_i32 s20, 11
	v_ashrrev_i32_e32 v1, 31, v0
	v_add_co_u32 v0, vcc_lo, s10, v0
	v_add_co_ci_u32_e64 v1, null, s11, v1, vcc_lo
	s_cbranch_scc1 .LBB14_815
; %bb.809:
	s_cmp_gt_i32 s20, 25
	s_cbranch_scc0 .LBB14_816
; %bb.810:
	s_cmp_gt_i32 s20, 28
	s_cbranch_scc0 .LBB14_817
	;; [unrolled: 3-line block ×4, first 2 shown]
; %bb.813:
	s_cmp_eq_u32 s20, 46
	s_cbranch_scc0 .LBB14_824
; %bb.814:
	global_load_dword v2, v[0:1], off
	s_mov_b32 s21, 0
	s_mov_b32 s23, -1
	s_waitcnt vmcnt(0)
	v_lshlrev_b32_e32 v4, 16, v2
	s_branch .LBB14_826
.LBB14_815:
	s_mov_b32 s20, -1
	s_mov_b32 s21, s0
                                        ; implicit-def: $vgpr4
	s_branch .LBB14_889
.LBB14_816:
	s_mov_b32 s24, -1
	s_mov_b32 s21, s0
                                        ; implicit-def: $vgpr4
	s_branch .LBB14_855
.LBB14_817:
	s_mov_b32 s24, -1
	s_mov_b32 s21, s0
                                        ; implicit-def: $vgpr4
	s_branch .LBB14_836
.LBB14_818:
	s_mov_b32 s24, -1
	s_mov_b32 s21, s0
                                        ; implicit-def: $vgpr4
	s_branch .LBB14_831
.LBB14_819:
	s_andn2_saveexec_b32 s24, s24
	s_cbranch_execz .LBB14_714
.LBB14_820:
	v_add_f32_e64 v1, 0x46000000, |v0|
	s_andn2_b32 s23, s23, exec_lo
	v_and_b32_e32 v1, 0xff, v1
	v_cmp_ne_u32_e32 vcc_lo, 0, v1
	s_and_b32 s25, vcc_lo, exec_lo
	s_or_b32 s23, s23, s25
	s_or_b32 exec_lo, exec_lo, s24
	v_mov_b32_e32 v4, 0
	s_and_saveexec_b32 s24, s23
	s_cbranch_execnz .LBB14_715
	s_branch .LBB14_716
.LBB14_821:
	s_mov_b32 s24, -1
	s_mov_b32 s21, s0
	s_branch .LBB14_825
.LBB14_822:
	s_andn2_saveexec_b32 s24, s24
	s_cbranch_execz .LBB14_727
.LBB14_823:
	v_add_f32_e64 v1, 0x42800000, |v0|
	s_andn2_b32 s23, s23, exec_lo
	v_and_b32_e32 v1, 0xff, v1
	v_cmp_ne_u32_e32 vcc_lo, 0, v1
	s_and_b32 s25, vcc_lo, exec_lo
	s_or_b32 s23, s23, s25
	s_or_b32 exec_lo, exec_lo, s24
	v_mov_b32_e32 v4, 0
	s_and_saveexec_b32 s24, s23
	s_cbranch_execnz .LBB14_728
	s_branch .LBB14_729
.LBB14_824:
	s_mov_b32 s21, -1
.LBB14_825:
                                        ; implicit-def: $vgpr4
.LBB14_826:
	s_and_b32 vcc_lo, exec_lo, s24
	s_cbranch_vccz .LBB14_830
; %bb.827:
	s_cmp_eq_u32 s20, 44
	s_cbranch_scc0 .LBB14_829
; %bb.828:
	global_load_ubyte v2, v[0:1], off
	s_mov_b32 s21, 0
	s_mov_b32 s23, -1
	s_waitcnt vmcnt(0)
	v_lshlrev_b32_e32 v3, 23, v2
	v_cmp_ne_u32_e32 vcc_lo, 0xff, v2
	v_cndmask_b32_e32 v3, 0x7f800001, v3, vcc_lo
	v_cmp_ne_u32_e32 vcc_lo, 0, v2
	v_cndmask_b32_e32 v4, 0x400000, v3, vcc_lo
	s_branch .LBB14_830
.LBB14_829:
	s_mov_b32 s21, -1
                                        ; implicit-def: $vgpr4
.LBB14_830:
	s_mov_b32 s24, 0
.LBB14_831:
	s_and_b32 vcc_lo, exec_lo, s24
	s_cbranch_vccz .LBB14_835
; %bb.832:
	s_cmp_eq_u32 s20, 29
	s_cbranch_scc0 .LBB14_834
; %bb.833:
	global_load_dwordx2 v[2:3], v[0:1], off
	s_mov_b32 s21, 0
	s_mov_b32 s23, -1
	s_mov_b32 s24, 0
	s_waitcnt vmcnt(0)
	v_ffbh_u32_e32 v4, v3
	v_min_u32_e32 v4, 32, v4
	v_lshlrev_b64 v[2:3], v4, v[2:3]
	v_min_u32_e32 v2, 1, v2
	v_or_b32_e32 v2, v3, v2
	v_sub_nc_u32_e32 v3, 32, v4
	v_cvt_f32_u32_e32 v2, v2
	v_ldexp_f32 v4, v2, v3
	s_branch .LBB14_836
.LBB14_834:
	s_mov_b32 s21, -1
                                        ; implicit-def: $vgpr4
.LBB14_835:
	s_mov_b32 s24, 0
.LBB14_836:
	s_and_b32 vcc_lo, exec_lo, s24
	s_cbranch_vccz .LBB14_854
; %bb.837:
	s_cmp_lt_i32 s20, 27
	s_cbranch_scc1 .LBB14_840
; %bb.838:
	s_cmp_gt_i32 s20, 27
	s_cbranch_scc0 .LBB14_841
; %bb.839:
	global_load_dword v2, v[0:1], off
	s_mov_b32 s23, 0
	s_waitcnt vmcnt(0)
	v_cvt_f32_u32_e32 v4, v2
	s_branch .LBB14_842
.LBB14_840:
	s_mov_b32 s23, -1
                                        ; implicit-def: $vgpr4
	s_branch .LBB14_845
.LBB14_841:
	s_mov_b32 s23, -1
                                        ; implicit-def: $vgpr4
.LBB14_842:
	s_andn2_b32 vcc_lo, exec_lo, s23
	s_cbranch_vccnz .LBB14_844
; %bb.843:
	global_load_ushort v2, v[0:1], off
	s_waitcnt vmcnt(0)
	v_cvt_f32_u32_e32 v4, v2
.LBB14_844:
	s_mov_b32 s23, 0
.LBB14_845:
	s_andn2_b32 vcc_lo, exec_lo, s23
	s_cbranch_vccnz .LBB14_853
; %bb.846:
	global_load_ubyte v2, v[0:1], off
	s_mov_b32 s23, 0
	s_mov_b32 s24, exec_lo
	s_waitcnt vmcnt(0)
	v_cmpx_lt_i16_e32 0x7f, v2
	s_xor_b32 s24, exec_lo, s24
	s_cbranch_execz .LBB14_867
; %bb.847:
	s_mov_b32 s23, -1
	s_mov_b32 s25, exec_lo
	v_cmpx_eq_u16_e32 0x80, v2
; %bb.848:
	s_xor_b32 s23, exec_lo, -1
; %bb.849:
	s_or_b32 exec_lo, exec_lo, s25
	s_and_b32 s23, s23, exec_lo
	s_or_saveexec_b32 s24, s24
	v_mov_b32_e32 v4, 0x7f800001
	s_xor_b32 exec_lo, exec_lo, s24
	s_cbranch_execnz .LBB14_868
.LBB14_850:
	s_or_b32 exec_lo, exec_lo, s24
	s_and_saveexec_b32 s24, s23
	s_cbranch_execz .LBB14_852
.LBB14_851:
	v_and_b32_e32 v3, 0xffff, v2
	v_lshlrev_b32_e32 v2, 24, v2
	v_and_b32_e32 v4, 7, v3
	v_bfe_u32 v8, v3, 3, 4
	v_and_b32_e32 v2, 0x80000000, v2
	v_ffbh_u32_e32 v5, v4
	v_cmp_eq_u32_e32 vcc_lo, 0, v8
	v_min_u32_e32 v5, 32, v5
	v_subrev_nc_u32_e32 v6, 28, v5
	v_sub_nc_u32_e32 v5, 29, v5
	v_lshlrev_b32_e32 v3, v6, v3
	v_cndmask_b32_e32 v5, v8, v5, vcc_lo
	v_and_b32_e32 v3, 7, v3
	v_cndmask_b32_e32 v3, v4, v3, vcc_lo
	v_lshl_add_u32 v4, v5, 23, 0x3b800000
	v_lshlrev_b32_e32 v3, 20, v3
	v_or3_b32 v4, v2, v4, v3
.LBB14_852:
	s_or_b32 exec_lo, exec_lo, s24
.LBB14_853:
	s_mov_b32 s23, -1
.LBB14_854:
	s_mov_b32 s24, 0
.LBB14_855:
	s_and_b32 vcc_lo, exec_lo, s24
	s_cbranch_vccz .LBB14_888
; %bb.856:
	s_cmp_gt_i32 s20, 22
	s_cbranch_scc0 .LBB14_866
; %bb.857:
	s_cmp_lt_i32 s20, 24
	s_cbranch_scc1 .LBB14_869
; %bb.858:
	s_cmp_gt_i32 s20, 24
	s_cbranch_scc0 .LBB14_870
; %bb.859:
	global_load_ubyte v2, v[0:1], off
	s_mov_b32 s23, exec_lo
	s_waitcnt vmcnt(0)
	v_cmpx_lt_i16_e32 0x7f, v2
	s_xor_b32 s23, exec_lo, s23
	s_cbranch_execz .LBB14_882
; %bb.860:
	s_mov_b32 s22, -1
	s_mov_b32 s24, exec_lo
	v_cmpx_eq_u16_e32 0x80, v2
; %bb.861:
	s_xor_b32 s22, exec_lo, -1
; %bb.862:
	s_or_b32 exec_lo, exec_lo, s24
	s_and_b32 s22, s22, exec_lo
	s_or_saveexec_b32 s23, s23
	v_mov_b32_e32 v4, 0x7f800001
	s_xor_b32 exec_lo, exec_lo, s23
	s_cbranch_execnz .LBB14_883
.LBB14_863:
	s_or_b32 exec_lo, exec_lo, s23
	s_and_saveexec_b32 s23, s22
	s_cbranch_execz .LBB14_865
.LBB14_864:
	v_and_b32_e32 v3, 0xffff, v2
	v_lshlrev_b32_e32 v2, 24, v2
	v_and_b32_e32 v4, 3, v3
	v_bfe_u32 v8, v3, 2, 5
	v_and_b32_e32 v2, 0x80000000, v2
	v_ffbh_u32_e32 v5, v4
	v_cmp_eq_u32_e32 vcc_lo, 0, v8
	v_min_u32_e32 v5, 32, v5
	v_subrev_nc_u32_e32 v6, 29, v5
	v_sub_nc_u32_e32 v5, 30, v5
	v_lshlrev_b32_e32 v3, v6, v3
	v_cndmask_b32_e32 v5, v8, v5, vcc_lo
	v_and_b32_e32 v3, 3, v3
	v_cndmask_b32_e32 v3, v4, v3, vcc_lo
	v_lshl_add_u32 v4, v5, 23, 0x37800000
	v_lshlrev_b32_e32 v3, 21, v3
	v_or3_b32 v4, v2, v4, v3
.LBB14_865:
	s_or_b32 exec_lo, exec_lo, s23
	s_mov_b32 s22, 0
	s_branch .LBB14_871
.LBB14_866:
	s_mov_b32 s22, -1
                                        ; implicit-def: $vgpr4
	s_branch .LBB14_877
.LBB14_867:
	s_or_saveexec_b32 s24, s24
	v_mov_b32_e32 v4, 0x7f800001
	s_xor_b32 exec_lo, exec_lo, s24
	s_cbranch_execz .LBB14_850
.LBB14_868:
	v_cmp_ne_u16_e32 vcc_lo, 0, v2
	v_mov_b32_e32 v4, 0
	s_andn2_b32 s23, s23, exec_lo
	s_and_b32 s25, vcc_lo, exec_lo
	s_or_b32 s23, s23, s25
	s_or_b32 exec_lo, exec_lo, s24
	s_and_saveexec_b32 s24, s23
	s_cbranch_execnz .LBB14_851
	s_branch .LBB14_852
.LBB14_869:
	s_mov_b32 s22, -1
                                        ; implicit-def: $vgpr4
	s_branch .LBB14_874
.LBB14_870:
	s_mov_b32 s22, -1
                                        ; implicit-def: $vgpr4
.LBB14_871:
	s_and_b32 vcc_lo, exec_lo, s22
	s_cbranch_vccz .LBB14_873
; %bb.872:
	global_load_ubyte v2, v[0:1], off
	s_waitcnt vmcnt(0)
	v_lshlrev_b32_e32 v2, 24, v2
	v_and_b32_e32 v3, 0x7f000000, v2
	v_ffbh_u32_e32 v4, v3
	v_add_nc_u32_e32 v6, 0x1000000, v3
	v_cmp_ne_u32_e32 vcc_lo, 0, v3
	v_min_u32_e32 v4, 32, v4
	v_sub_nc_u32_e64 v4, v4, 4 clamp
	v_lshlrev_b32_e32 v5, v4, v3
	v_lshlrev_b32_e32 v4, 23, v4
	v_lshrrev_b32_e32 v5, 4, v5
	v_sub_nc_u32_e32 v4, v5, v4
	v_ashrrev_i32_e32 v5, 8, v6
	v_add_nc_u32_e32 v4, 0x3c000000, v4
	v_and_or_b32 v4, 0x7f800000, v5, v4
	v_cndmask_b32_e32 v3, 0, v4, vcc_lo
	v_and_or_b32 v4, 0x80000000, v2, v3
.LBB14_873:
	s_mov_b32 s22, 0
.LBB14_874:
	s_andn2_b32 vcc_lo, exec_lo, s22
	s_cbranch_vccnz .LBB14_876
; %bb.875:
	global_load_ubyte v2, v[0:1], off
	s_waitcnt vmcnt(0)
	v_lshlrev_b32_e32 v3, 25, v2
	v_lshlrev_b16 v2, 8, v2
	v_lshrrev_b32_e32 v4, 4, v3
	v_and_or_b32 v5, 0x7f00, v2, 0.5
	v_cmp_gt_u32_e32 vcc_lo, 0x8000000, v3
	v_bfe_i32 v2, v2, 0, 16
	v_or_b32_e32 v4, 0x70000000, v4
	v_add_f32_e32 v5, -0.5, v5
	v_mul_f32_e32 v4, 0x7800000, v4
	v_cndmask_b32_e32 v3, v4, v5, vcc_lo
	v_and_or_b32 v4, 0x80000000, v2, v3
.LBB14_876:
	s_mov_b32 s22, 0
	s_mov_b32 s23, -1
.LBB14_877:
	s_andn2_b32 vcc_lo, exec_lo, s22
	s_mov_b32 s22, 0
	s_cbranch_vccnz .LBB14_888
; %bb.878:
	s_cmp_gt_i32 s20, 14
	s_cbranch_scc0 .LBB14_881
; %bb.879:
	s_cmp_eq_u32 s20, 15
	s_cbranch_scc0 .LBB14_884
; %bb.880:
	global_load_ushort v2, v[0:1], off
	s_mov_b32 s21, 0
	s_mov_b32 s23, -1
	s_waitcnt vmcnt(0)
	v_lshlrev_b32_e32 v4, 16, v2
	s_branch .LBB14_886
.LBB14_881:
	s_mov_b32 s22, -1
	s_branch .LBB14_885
.LBB14_882:
	s_or_saveexec_b32 s23, s23
	v_mov_b32_e32 v4, 0x7f800001
	s_xor_b32 exec_lo, exec_lo, s23
	s_cbranch_execz .LBB14_863
.LBB14_883:
	v_cmp_ne_u16_e32 vcc_lo, 0, v2
	v_mov_b32_e32 v4, 0
	s_andn2_b32 s22, s22, exec_lo
	s_and_b32 s24, vcc_lo, exec_lo
	s_or_b32 s22, s22, s24
	s_or_b32 exec_lo, exec_lo, s23
	s_and_saveexec_b32 s23, s22
	s_cbranch_execnz .LBB14_864
	s_branch .LBB14_865
.LBB14_884:
	s_mov_b32 s21, -1
.LBB14_885:
                                        ; implicit-def: $vgpr4
.LBB14_886:
	s_and_b32 vcc_lo, exec_lo, s22
	s_mov_b32 s22, 0
	s_cbranch_vccz .LBB14_888
; %bb.887:
	s_cmp_lg_u32 s20, 11
	s_mov_b32 s22, -1
	s_cselect_b32 s20, -1, 0
	s_andn2_b32 s21, s21, exec_lo
	s_and_b32 s20, s20, exec_lo
	s_or_b32 s21, s21, s20
.LBB14_888:
	s_mov_b32 s20, 0
.LBB14_889:
	s_andn2_b32 s25, s0, exec_lo
	s_and_b32 s21, s21, exec_lo
	s_and_b32 s23, s23, exec_lo
	;; [unrolled: 1-line block ×4, first 2 shown]
	s_or_b32 s21, s25, s21
.LBB14_890:
	s_or_b32 exec_lo, exec_lo, s13
	s_andn2_b32 s0, s0, exec_lo
	s_and_b32 s13, s21, exec_lo
	s_and_b32 s23, s23, exec_lo
	;; [unrolled: 1-line block ×4, first 2 shown]
	s_or_b32 s0, s0, s13
.LBB14_891:
	s_or_b32 exec_lo, exec_lo, s19
	s_andn2_b32 s13, s17, exec_lo
	s_and_b32 s1, s1, exec_lo
	s_and_b32 s0, s0, exec_lo
	s_or_b32 s17, s13, s1
	s_andn2_b32 s13, s16, exec_lo
	s_and_b32 s20, s23, exec_lo
	s_and_b32 s19, s22, exec_lo
	;; [unrolled: 1-line block ×3, first 2 shown]
	s_or_b32 s16, s13, s0
.LBB14_892:
	s_or_b32 exec_lo, exec_lo, s18
	s_andn2_b32 s0, s12, exec_lo
	s_and_b32 s12, s17, exec_lo
	s_andn2_b32 s13, s14, exec_lo
	s_and_b32 s14, s16, exec_lo
	s_or_b32 s12, s0, s12
	s_and_b32 s0, s20, exec_lo
	s_and_b32 s17, s19, exec_lo
	;; [unrolled: 1-line block ×3, first 2 shown]
	s_or_b32 s14, s13, s14
	s_or_b32 exec_lo, exec_lo, s15
	s_mov_b32 s13, 0
	s_and_saveexec_b32 s1, s14
	s_cbranch_execz .LBB14_272
.LBB14_893:
	s_mov_b32 s13, exec_lo
	s_andn2_b32 s16, s16, exec_lo
	s_trap 2
	s_or_b32 exec_lo, exec_lo, s1
	s_and_saveexec_b32 s1, s16
	s_xor_b32 s1, exec_lo, s1
	s_cbranch_execnz .LBB14_273
.LBB14_894:
	s_or_b32 exec_lo, exec_lo, s1
	s_and_saveexec_b32 s1, s17
	s_cbranch_execz .LBB14_940
.LBB14_895:
	s_sext_i32_i16 s14, s6
	s_cmp_lt_i32 s14, 5
	s_cbranch_scc1 .LBB14_900
; %bb.896:
	s_cmp_lt_i32 s14, 8
	s_cbranch_scc1 .LBB14_901
; %bb.897:
	;; [unrolled: 3-line block ×3, first 2 shown]
	s_cmp_gt_i32 s14, 9
	s_cbranch_scc0 .LBB14_903
; %bb.899:
	global_load_dwordx2 v[2:3], v[0:1], off
	s_mov_b32 s14, 0
	s_waitcnt vmcnt(0)
	v_cvt_f32_f64_e32 v4, v[2:3]
	s_branch .LBB14_904
.LBB14_900:
                                        ; implicit-def: $vgpr4
	s_branch .LBB14_921
.LBB14_901:
                                        ; implicit-def: $vgpr4
	s_branch .LBB14_910
.LBB14_902:
	s_mov_b32 s14, -1
                                        ; implicit-def: $vgpr4
	s_branch .LBB14_907
.LBB14_903:
	s_mov_b32 s14, -1
                                        ; implicit-def: $vgpr4
.LBB14_904:
	s_andn2_b32 vcc_lo, exec_lo, s14
	s_cbranch_vccnz .LBB14_906
; %bb.905:
	global_load_dword v4, v[0:1], off
.LBB14_906:
	s_mov_b32 s14, 0
.LBB14_907:
	s_andn2_b32 vcc_lo, exec_lo, s14
	s_cbranch_vccnz .LBB14_909
; %bb.908:
	global_load_dword v2, v[0:1], off
	s_waitcnt vmcnt(0)
	v_cvt_f32_f16_e32 v4, v2
.LBB14_909:
	s_cbranch_execnz .LBB14_920
.LBB14_910:
	s_sext_i32_i16 s14, s6
	s_cmp_lt_i32 s14, 6
	s_cbranch_scc1 .LBB14_913
; %bb.911:
	s_cmp_gt_i32 s14, 6
	s_cbranch_scc0 .LBB14_914
; %bb.912:
	global_load_dwordx2 v[2:3], v[0:1], off
	s_mov_b32 s14, 0
	s_waitcnt vmcnt(0)
	v_cvt_f32_f64_e32 v4, v[2:3]
	s_branch .LBB14_915
.LBB14_913:
	s_mov_b32 s14, -1
                                        ; implicit-def: $vgpr4
	s_branch .LBB14_918
.LBB14_914:
	s_mov_b32 s14, -1
                                        ; implicit-def: $vgpr4
.LBB14_915:
	s_andn2_b32 vcc_lo, exec_lo, s14
	s_cbranch_vccnz .LBB14_917
; %bb.916:
	global_load_dword v4, v[0:1], off
.LBB14_917:
	s_mov_b32 s14, 0
.LBB14_918:
	s_andn2_b32 vcc_lo, exec_lo, s14
	s_cbranch_vccnz .LBB14_920
; %bb.919:
	global_load_ushort v2, v[0:1], off
	s_waitcnt vmcnt(0)
	v_cvt_f32_f16_e32 v4, v2
.LBB14_920:
	s_cbranch_execnz .LBB14_939
.LBB14_921:
	s_sext_i32_i16 s14, s6
	s_cmp_lt_i32 s14, 2
	s_cbranch_scc1 .LBB14_925
; %bb.922:
	s_cmp_lt_i32 s14, 3
	s_cbranch_scc1 .LBB14_926
; %bb.923:
	s_cmp_gt_i32 s14, 3
	s_cbranch_scc0 .LBB14_927
; %bb.924:
	global_load_dwordx2 v[2:3], v[0:1], off
	s_mov_b32 s14, 0
	s_waitcnt vmcnt(0)
	v_xor_b32_e32 v4, v2, v3
	v_ffbh_i32_e32 v5, v3
	v_ashrrev_i32_e32 v4, 31, v4
	v_add_nc_u32_e32 v5, -1, v5
	v_add_nc_u32_e32 v4, 32, v4
	v_min_u32_e32 v4, v5, v4
	v_lshlrev_b64 v[2:3], v4, v[2:3]
	v_min_u32_e32 v2, 1, v2
	v_or_b32_e32 v2, v3, v2
	v_sub_nc_u32_e32 v3, 32, v4
	v_cvt_f32_i32_e32 v2, v2
	v_ldexp_f32 v4, v2, v3
	s_branch .LBB14_928
.LBB14_925:
                                        ; implicit-def: $vgpr4
	s_branch .LBB14_934
.LBB14_926:
	s_mov_b32 s14, -1
                                        ; implicit-def: $vgpr4
	s_branch .LBB14_931
.LBB14_927:
	s_mov_b32 s14, -1
                                        ; implicit-def: $vgpr4
.LBB14_928:
	s_andn2_b32 vcc_lo, exec_lo, s14
	s_cbranch_vccnz .LBB14_930
; %bb.929:
	global_load_dword v2, v[0:1], off
	s_waitcnt vmcnt(0)
	v_cvt_f32_i32_e32 v4, v2
.LBB14_930:
	s_mov_b32 s14, 0
.LBB14_931:
	s_andn2_b32 vcc_lo, exec_lo, s14
	s_cbranch_vccnz .LBB14_933
; %bb.932:
	global_load_sshort v2, v[0:1], off
	s_waitcnt vmcnt(0)
	v_cvt_f32_i32_e32 v4, v2
.LBB14_933:
	s_cbranch_execnz .LBB14_939
.LBB14_934:
	s_sext_i32_i16 s14, s6
	s_cmp_gt_i32 s14, 0
	s_mov_b32 s14, 0
	s_cbranch_scc0 .LBB14_936
; %bb.935:
	global_load_sbyte v2, v[0:1], off
	s_waitcnt vmcnt(0)
	v_cvt_f32_i32_e32 v4, v2
	s_branch .LBB14_937
.LBB14_936:
	s_mov_b32 s14, -1
                                        ; implicit-def: $vgpr4
.LBB14_937:
	s_andn2_b32 vcc_lo, exec_lo, s14
	s_cbranch_vccnz .LBB14_939
; %bb.938:
	global_load_ubyte v0, v[0:1], off
	s_waitcnt vmcnt(0)
	v_cvt_f32_ubyte0_e32 v4, v0
.LBB14_939:
	s_or_b32 s0, s0, exec_lo
.LBB14_940:
	s_or_b32 exec_lo, exec_lo, s1
	s_mov_b32 s16, 0
	s_mov_b32 s15, 0
                                        ; implicit-def: $sgpr1
                                        ; implicit-def: $vgpr2_vgpr3
                                        ; implicit-def: $vgpr0
	s_and_saveexec_b32 s14, s0
	s_cbranch_execz .LBB14_958
; %bb.941:
	v_mov_b32_e32 v0, 0
	s_mov_b32 s15, exec_lo
	s_waitcnt vmcnt(0)
	v_cmpx_neq_f32_e64 0x7f800000, |v4|
	s_cbranch_execz .LBB14_951
; %bb.942:
                                        ; implicit-def: $vgpr0
	s_mov_b32 s1, exec_lo
	v_cmpx_nlt_f32_e64 |v4|, 0.5
	s_xor_b32 s16, exec_lo, s1
	s_cbranch_execz .LBB14_948
; %bb.943:
	v_and_b32_e32 v0, 0x7fffffff, v4
                                        ; implicit-def: $vgpr2
                                        ; implicit-def: $vgpr1
	s_mov_b32 s1, exec_lo
	v_cmpx_ngt_f32_e64 0x48000000, |v4|
	s_xor_b32 s17, exec_lo, s1
	s_cbranch_execz .LBB14_945
; %bb.944:
	s_mov_b32 s0, 0x7fffff
	v_mov_b32_e32 v3, 0
	v_and_or_b32 v13, v0, s0, 0x800000
	v_mad_u64_u32 v[1:2], null, 0xfe5163ab, v13, 0
	v_mad_u64_u32 v[5:6], null, 0x3c439041, v13, v[2:3]
	v_mov_b32_e32 v2, v6
	v_lshrrev_b32_e32 v6, 23, v0
	v_mad_u64_u32 v[8:9], null, 0xdb629599, v13, v[2:3]
	v_add_nc_u32_e32 v6, 0xffffff88, v6
	v_cmp_lt_u32_e32 vcc_lo, 63, v6
	v_mov_b32_e32 v2, v9
	v_cndmask_b32_e64 v12, 0, 0xffffffc0, vcc_lo
	v_mad_u64_u32 v[9:10], null, 0xf534ddc0, v13, v[2:3]
	v_cndmask_b32_e32 v1, v8, v1, vcc_lo
	v_add_nc_u32_e32 v6, v12, v6
	v_mov_b32_e32 v2, v10
	v_cmp_lt_u32_e64 s0, 31, v6
	v_cndmask_b32_e32 v5, v9, v5, vcc_lo
	v_mad_u64_u32 v[10:11], null, 0xfc2757d1, v13, v[2:3]
	v_cndmask_b32_e64 v14, 0, 0xffffffe0, s0
	v_cndmask_b32_e64 v1, v5, v1, s0
	v_add_nc_u32_e32 v6, v14, v6
	v_mov_b32_e32 v2, v11
	v_cmp_lt_u32_e64 s1, 31, v6
	v_mad_u64_u32 v[11:12], null, 0x4e441529, v13, v[2:3]
	v_mov_b32_e32 v2, v12
	v_cndmask_b32_e64 v12, 0, 0xffffffe0, s1
	v_mad_u64_u32 v[2:3], null, 0xa2f9836e, v13, v[2:3]
	v_cndmask_b32_e32 v13, v11, v9, vcc_lo
	v_add_nc_u32_e32 v6, v12, v6
	v_cndmask_b32_e32 v2, v2, v10, vcc_lo
	v_cndmask_b32_e32 v3, v3, v11, vcc_lo
	;; [unrolled: 1-line block ×3, first 2 shown]
	v_sub_nc_u32_e32 v11, 32, v6
	v_cmp_eq_u32_e32 vcc_lo, 0, v6
	v_cndmask_b32_e64 v9, v2, v13, s0
	v_cndmask_b32_e64 v2, v3, v2, s0
	;; [unrolled: 1-line block ×8, first 2 shown]
	v_alignbit_b32 v12, v2, v9, v11
	v_alignbit_b32 v8, v9, v3, v11
	;; [unrolled: 1-line block ×3, first 2 shown]
	v_cndmask_b32_e32 v2, v12, v2, vcc_lo
	v_cndmask_b32_e32 v5, v8, v9, vcc_lo
	;; [unrolled: 1-line block ×3, first 2 shown]
	v_bfe_u32 v6, v2, 29, 1
	v_alignbit_b32 v8, v2, v5, 30
	v_alignbit_b32 v5, v5, v3, 30
	;; [unrolled: 1-line block ×3, first 2 shown]
	v_sub_nc_u32_e32 v9, 0, v6
	v_xor_b32_e32 v8, v8, v9
	v_xor_b32_e32 v3, v5, v9
	v_xor_b32_e32 v1, v1, v9
	v_lshrrev_b32_e32 v9, 29, v2
	v_lshrrev_b32_e32 v2, 30, v2
	v_ffbh_u32_e32 v10, v8
	v_add_nc_u32_e32 v2, v6, v2
	v_min_u32_e32 v10, 32, v10
	v_sub_nc_u32_e32 v5, 31, v10
	v_lshlrev_b32_e32 v11, 23, v10
	v_alignbit_b32 v8, v8, v3, v5
	v_alignbit_b32 v1, v3, v1, v5
	v_lshlrev_b32_e32 v3, 31, v9
	v_alignbit_b32 v5, v8, v1, 9
	v_or_b32_e32 v9, 0.5, v3
	v_lshrrev_b32_e32 v8, 9, v8
	v_or_b32_e32 v3, 0x33000000, v3
	v_ffbh_u32_e32 v12, v5
	v_sub_nc_u32_e32 v9, v9, v11
	v_min_u32_e32 v11, 32, v12
	v_or_b32_e32 v8, v8, v9
	v_not_b32_e32 v9, v11
	v_mul_f32_e32 v12, 0x3fc90fda, v8
	v_add_lshl_u32 v10, v11, v10, 23
	v_alignbit_b32 v1, v5, v1, v9
	v_fma_f32 v5, 0x3fc90fda, v8, -v12
	v_sub_nc_u32_e32 v3, v3, v10
	v_lshrrev_b32_e32 v1, 9, v1
	v_fmamk_f32 v5, v8, 0x33a22168, v5
	v_or_b32_e32 v1, v3, v1
	v_fmac_f32_e32 v5, 0x3fc90fda, v1
	v_add_f32_e32 v1, v12, v5
.LBB14_945:
	s_andn2_saveexec_b32 s0, s17
; %bb.946:
	v_mul_f32_e64 v1, 0x3f22f983, |v4|
	v_rndne_f32_e32 v2, v1
	v_fma_f32 v1, 0xbfc90fda, v2, |v4|
	v_fmamk_f32 v1, v2, 0xb3a22168, v1
	v_fmamk_f32 v1, v2, 0xa7c234c4, v1
	v_cvt_i32_f32_e32 v2, v2
; %bb.947:
	s_or_b32 exec_lo, exec_lo, s0
	v_mul_f32_e32 v3, v1, v1
	s_mov_b32 s0, 0xb94c1982
	s_mov_b32 s1, 0x37d75334
	v_and_b32_e32 v8, 1, v2
	v_lshlrev_b32_e32 v2, 30, v2
	v_fmaak_f32 v5, s0, v3, 0x3c0881c4
	v_fmaak_f32 v6, s1, v3, 0xbab64f3b
	v_xor_b32_e32 v0, v0, v4
	v_cmp_eq_u32_e32 vcc_lo, 0, v8
	v_and_b32_e32 v2, 0x80000000, v2
	v_fmaak_f32 v5, v3, v5, 0xbe2aaa9d
	v_fmaak_f32 v6, v3, v6, 0x3d2aabf7
	v_mul_f32_e32 v5, v3, v5
	v_fmaak_f32 v6, v3, v6, 0xbf000004
	v_fmac_f32_e32 v1, v1, v5
	v_fma_f32 v3, v3, v6, 1.0
	v_cndmask_b32_e32 v1, v3, v1, vcc_lo
	v_cmp_class_f32_e64 vcc_lo, v4, 0x1f8
	v_xor3_b32 v0, v0, v2, v1
	v_cndmask_b32_e32 v0, 0x7fc00000, v0, vcc_lo
	v_div_scale_f32 v1, null, v4, v4, v0
	v_rcp_f32_e32 v2, v1
	v_fma_f32 v3, -v1, v2, 1.0
	v_fmac_f32_e32 v2, v3, v2
	v_div_scale_f32 v3, vcc_lo, v0, v4, v0
	v_mul_f32_e32 v5, v3, v2
	v_fma_f32 v6, -v1, v5, v3
	v_fmac_f32_e32 v5, v6, v2
	v_fma_f32 v1, -v1, v5, v3
	v_div_fmas_f32 v1, v1, v2, v5
	v_div_fixup_f32 v0, v1, v4, v0
                                        ; implicit-def: $vgpr4
.LBB14_948:
	s_andn2_saveexec_b32 s0, s16
	s_cbranch_execz .LBB14_950
; %bb.949:
	v_mul_f32_e32 v0, v4, v4
	s_mov_b32 s1, 0x2f309231
	v_fmaak_f32 v1, s1, v0, 0xb2d7322b
	v_fmaak_f32 v1, v0, v1, 0x3638ef1d
	;; [unrolled: 1-line block ×5, first 2 shown]
	v_fma_f32 v0, v0, v1, 1.0
.LBB14_950:
	s_or_b32 exec_lo, exec_lo, s0
.LBB14_951:
	s_or_b32 exec_lo, exec_lo, s15
	v_mul_lo_u32 v1, v7, s2
	s_and_b32 s1, s4, 0xff
	s_cmp_lt_i32 s1, 11
	v_ashrrev_i32_e32 v3, 31, v1
	v_add_co_u32 v2, vcc_lo, s8, v1
	v_add_co_ci_u32_e64 v3, null, s9, v3, vcc_lo
	s_cbranch_scc1 .LBB14_961
; %bb.952:
	s_and_b32 s15, 0xffff, s1
	s_mov_b32 s16, -1
	s_cmp_gt_i32 s15, 25
	s_mov_b32 s0, s12
	s_cbranch_scc0 .LBB14_989
; %bb.953:
	s_cmp_gt_i32 s15, 28
	s_mov_b32 s0, s12
	s_cbranch_scc0 .LBB14_973
; %bb.954:
	s_cmp_gt_i32 s15, 43
	s_mov_b32 s0, s12
	s_cbranch_scc0 .LBB14_969
; %bb.955:
	s_cmp_gt_i32 s15, 45
	s_mov_b32 s0, s12
	s_cbranch_scc0 .LBB14_963
; %bb.956:
	s_cmp_eq_u32 s15, 46
	s_mov_b32 s0, -1
	s_cbranch_scc0 .LBB14_962
; %bb.957:
	v_bfe_u32 v1, v0, 16, 1
	v_cmp_o_f32_e32 vcc_lo, v0, v0
	v_mov_b32_e32 v4, 0x7fc0
	s_mov_b32 s0, 0
	s_mov_b32 s16, 0
	v_add3_u32 v1, v0, v1, 0x7fff
	v_cndmask_b32_sdwa v1, v4, v1, vcc_lo dst_sel:DWORD dst_unused:UNUSED_PAD src0_sel:DWORD src1_sel:WORD_1
	global_store_dword v[2:3], v1, off
	s_branch .LBB14_963
.LBB14_958:
	s_or_b32 exec_lo, exec_lo, s14
	s_and_saveexec_b32 s0, s12
	s_cbranch_execnz .LBB14_1031
.LBB14_959:
	s_or_b32 exec_lo, exec_lo, s0
	s_and_saveexec_b32 s0, s16
	s_xor_b32 s0, exec_lo, s0
	s_cbranch_execz .LBB14_1032
.LBB14_960:
	v_cmp_neq_f32_e32 vcc_lo, 0, v0
	v_cndmask_b32_e64 v1, 0, 1, vcc_lo
	s_waitcnt vmcnt(0)
	global_store_byte v[2:3], v1, off
	s_or_b32 exec_lo, exec_lo, s0
	s_and_saveexec_b32 s0, s15
	s_xor_b32 s0, exec_lo, s0
	s_cbranch_execz .LBB14_1070
	s_branch .LBB14_1033
.LBB14_961:
	s_mov_b32 s17, 0
	s_mov_b32 s16, -1
	s_mov_b32 s0, s12
	s_branch .LBB14_1030
.LBB14_962:
	s_mov_b32 s16, 0
.LBB14_963:
	s_and_b32 vcc_lo, exec_lo, s16
	s_cbranch_vccz .LBB14_968
; %bb.964:
	s_cmp_eq_u32 s15, 44
	s_mov_b32 s0, -1
	s_cbranch_scc0 .LBB14_968
; %bb.965:
	v_bfe_u32 v4, v0, 23, 8
	v_mov_b32_e32 v1, 0xff
	s_mov_b32 s16, exec_lo
	v_cmpx_ne_u32_e32 0xff, v4
	s_cbranch_execz .LBB14_967
; %bb.966:
	v_and_b32_e32 v1, 0x400000, v0
	v_and_or_b32 v4, 0x3fffff, v0, v4
	v_cmp_ne_u32_e32 vcc_lo, 0, v1
	v_cmp_ne_u32_e64 s0, 0, v4
	v_lshrrev_b32_e32 v1, 23, v0
	s_and_b32 s0, vcc_lo, s0
	v_cndmask_b32_e64 v4, 0, 1, s0
	v_add_nc_u32_e32 v1, v1, v4
.LBB14_967:
	s_or_b32 exec_lo, exec_lo, s16
	s_mov_b32 s0, 0
	global_store_byte v[2:3], v1, off
.LBB14_968:
	s_mov_b32 s16, 0
.LBB14_969:
	s_and_b32 vcc_lo, exec_lo, s16
	s_cbranch_vccz .LBB14_972
; %bb.970:
	s_cmp_eq_u32 s15, 29
	s_mov_b32 s0, -1
	s_cbranch_scc0 .LBB14_972
; %bb.971:
	v_trunc_f32_e32 v1, v0
	s_mov_b32 s0, 0
	s_mov_b32 s16, 0
	v_mul_f32_e32 v4, 0x2f800000, v1
	v_floor_f32_e32 v4, v4
	v_fmamk_f32 v1, v4, 0xcf800000, v1
	v_cvt_u32_f32_e32 v5, v4
	v_cvt_u32_f32_e32 v4, v1
	global_store_dwordx2 v[2:3], v[4:5], off
	s_branch .LBB14_973
.LBB14_972:
	s_mov_b32 s16, 0
.LBB14_973:
	s_and_b32 vcc_lo, exec_lo, s16
	s_cbranch_vccz .LBB14_988
; %bb.974:
	s_cmp_lt_i32 s15, 27
	s_mov_b32 s16, -1
	s_cbranch_scc1 .LBB14_980
; %bb.975:
	v_cvt_u32_f32_e32 v1, v0
	s_cmp_gt_i32 s15, 27
	s_cbranch_scc0 .LBB14_977
; %bb.976:
	s_mov_b32 s16, 0
	global_store_dword v[2:3], v1, off
.LBB14_977:
	s_andn2_b32 vcc_lo, exec_lo, s16
	s_cbranch_vccnz .LBB14_979
; %bb.978:
	global_store_short v[2:3], v1, off
.LBB14_979:
	s_mov_b32 s16, 0
.LBB14_980:
	s_andn2_b32 vcc_lo, exec_lo, s16
	s_cbranch_vccnz .LBB14_988
; %bb.981:
	v_and_b32_e32 v1, 0x7fffffff, v0
	v_mov_b32_e32 v4, 0x80
	s_mov_b32 s16, exec_lo
	v_cmpx_gt_u32_e32 0x43800000, v1
	s_cbranch_execz .LBB14_987
; %bb.982:
	v_cmp_lt_u32_e32 vcc_lo, 0x3bffffff, v1
	s_mov_b32 s17, 0
                                        ; implicit-def: $vgpr1
	s_and_saveexec_b32 s18, vcc_lo
	s_xor_b32 s18, exec_lo, s18
	s_cbranch_execz .LBB14_1085
; %bb.983:
	v_bfe_u32 v1, v0, 20, 1
	s_mov_b32 s17, exec_lo
	v_add3_u32 v1, v0, v1, 0x487ffff
	v_lshrrev_b32_e32 v1, 20, v1
	s_andn2_saveexec_b32 s18, s18
	s_cbranch_execnz .LBB14_1086
.LBB14_984:
	s_or_b32 exec_lo, exec_lo, s18
	v_mov_b32_e32 v4, 0
	s_and_saveexec_b32 s18, s17
.LBB14_985:
	v_lshrrev_b32_e32 v4, 24, v0
	v_and_or_b32 v4, 0x80, v4, v1
.LBB14_986:
	s_or_b32 exec_lo, exec_lo, s18
.LBB14_987:
	s_or_b32 exec_lo, exec_lo, s16
	global_store_byte v[2:3], v4, off
.LBB14_988:
	s_mov_b32 s16, 0
.LBB14_989:
	s_and_b32 vcc_lo, exec_lo, s16
	s_mov_b32 s16, 0
	s_cbranch_vccz .LBB14_1029
; %bb.990:
	s_cmp_gt_i32 s15, 22
	s_mov_b32 s17, -1
	s_cbranch_scc0 .LBB14_1022
; %bb.991:
	s_cmp_lt_i32 s15, 24
	s_cbranch_scc1 .LBB14_1011
; %bb.992:
	s_cmp_gt_i32 s15, 24
	s_cbranch_scc0 .LBB14_1000
; %bb.993:
	v_and_b32_e32 v1, 0x7fffffff, v0
	v_mov_b32_e32 v4, 0x80
	s_mov_b32 s17, exec_lo
	v_cmpx_gt_u32_e32 0x47800000, v1
	s_cbranch_execz .LBB14_999
; %bb.994:
	v_cmp_lt_u32_e32 vcc_lo, 0x37ffffff, v1
	s_mov_b32 s18, 0
                                        ; implicit-def: $vgpr1
	s_and_saveexec_b32 s19, vcc_lo
	s_xor_b32 s19, exec_lo, s19
	s_cbranch_execz .LBB14_1221
; %bb.995:
	v_bfe_u32 v1, v0, 21, 1
	s_mov_b32 s18, exec_lo
	v_add3_u32 v1, v0, v1, 0x88fffff
	v_lshrrev_b32_e32 v1, 21, v1
	s_andn2_saveexec_b32 s19, s19
	s_cbranch_execnz .LBB14_1222
.LBB14_996:
	s_or_b32 exec_lo, exec_lo, s19
	v_mov_b32_e32 v4, 0
	s_and_saveexec_b32 s19, s18
.LBB14_997:
	v_lshrrev_b32_e32 v4, 24, v0
	v_and_or_b32 v4, 0x80, v4, v1
.LBB14_998:
	s_or_b32 exec_lo, exec_lo, s19
.LBB14_999:
	s_or_b32 exec_lo, exec_lo, s17
	s_mov_b32 s17, 0
	global_store_byte v[2:3], v4, off
.LBB14_1000:
	s_and_b32 vcc_lo, exec_lo, s17
	s_cbranch_vccz .LBB14_1010
; %bb.1001:
	v_and_b32_e32 v4, 0x7fffffff, v0
	s_mov_b32 s17, exec_lo
                                        ; implicit-def: $vgpr1
	v_cmpx_gt_u32_e32 0x43f00000, v4
	s_xor_b32 s17, exec_lo, s17
	s_cbranch_execz .LBB14_1007
; %bb.1002:
	s_mov_b32 s18, exec_lo
                                        ; implicit-def: $vgpr1
	v_cmpx_lt_u32_e32 0x3c7fffff, v4
	s_xor_b32 s18, exec_lo, s18
; %bb.1003:
	v_bfe_u32 v1, v0, 20, 1
	v_add3_u32 v1, v0, v1, 0x407ffff
	v_and_b32_e32 v4, 0xff00000, v1
	v_lshrrev_b32_e32 v1, 20, v1
	v_cmp_ne_u32_e32 vcc_lo, 0x7f00000, v4
	v_cndmask_b32_e32 v1, 0x7e, v1, vcc_lo
; %bb.1004:
	s_andn2_saveexec_b32 s18, s18
; %bb.1005:
	v_add_f32_e64 v1, 0x46800000, |v0|
; %bb.1006:
	s_or_b32 exec_lo, exec_lo, s18
                                        ; implicit-def: $vgpr4
.LBB14_1007:
	s_andn2_saveexec_b32 s17, s17
; %bb.1008:
	v_mov_b32_e32 v1, 0x7f
	v_cmp_lt_u32_e32 vcc_lo, 0x7f800000, v4
	v_cndmask_b32_e32 v1, 0x7e, v1, vcc_lo
; %bb.1009:
	s_or_b32 exec_lo, exec_lo, s17
	v_lshrrev_b32_e32 v4, 24, v0
	v_and_or_b32 v1, 0x80, v4, v1
	global_store_byte v[2:3], v1, off
.LBB14_1010:
	s_mov_b32 s17, 0
.LBB14_1011:
	s_andn2_b32 vcc_lo, exec_lo, s17
	s_cbranch_vccnz .LBB14_1021
; %bb.1012:
	v_and_b32_e32 v4, 0x7fffffff, v0
	s_mov_b32 s17, exec_lo
                                        ; implicit-def: $vgpr1
	v_cmpx_gt_u32_e32 0x47800000, v4
	s_xor_b32 s17, exec_lo, s17
	s_cbranch_execz .LBB14_1018
; %bb.1013:
	s_mov_b32 s18, exec_lo
                                        ; implicit-def: $vgpr1
	v_cmpx_lt_u32_e32 0x387fffff, v4
	s_xor_b32 s18, exec_lo, s18
; %bb.1014:
	v_bfe_u32 v1, v0, 21, 1
	v_add3_u32 v1, v0, v1, 0x80fffff
	v_lshrrev_b32_e32 v1, 21, v1
; %bb.1015:
	s_andn2_saveexec_b32 s18, s18
; %bb.1016:
	v_add_f32_e64 v1, 0x43000000, |v0|
; %bb.1017:
	s_or_b32 exec_lo, exec_lo, s18
                                        ; implicit-def: $vgpr4
.LBB14_1018:
	s_andn2_saveexec_b32 s17, s17
; %bb.1019:
	v_mov_b32_e32 v1, 0x7f
	v_cmp_lt_u32_e32 vcc_lo, 0x7f800000, v4
	v_cndmask_b32_e32 v1, 0x7c, v1, vcc_lo
; %bb.1020:
	s_or_b32 exec_lo, exec_lo, s17
	v_lshrrev_b32_e32 v4, 24, v0
	v_and_or_b32 v1, 0x80, v4, v1
	global_store_byte v[2:3], v1, off
.LBB14_1021:
	s_mov_b32 s17, 0
.LBB14_1022:
	s_andn2_b32 vcc_lo, exec_lo, s17
	s_mov_b32 s17, 0
	s_cbranch_vccnz .LBB14_1030
; %bb.1023:
	s_cmp_gt_i32 s15, 14
	s_mov_b32 s17, -1
	s_cbranch_scc0 .LBB14_1027
; %bb.1024:
	s_cmp_eq_u32 s15, 15
	s_mov_b32 s0, -1
	s_cbranch_scc0 .LBB14_1026
; %bb.1025:
	v_bfe_u32 v1, v0, 16, 1
	v_cmp_o_f32_e32 vcc_lo, v0, v0
	v_mov_b32_e32 v4, 0x7fc0
	s_mov_b32 s0, 0
	v_add3_u32 v1, v0, v1, 0x7fff
	v_cndmask_b32_sdwa v1, v4, v1, vcc_lo dst_sel:DWORD dst_unused:UNUSED_PAD src0_sel:DWORD src1_sel:WORD_1
	global_store_short v[2:3], v1, off
.LBB14_1026:
	s_mov_b32 s17, 0
.LBB14_1027:
	s_and_b32 vcc_lo, exec_lo, s17
	s_mov_b32 s17, 0
	s_cbranch_vccz .LBB14_1030
; %bb.1028:
	s_cmp_lg_u32 s15, 11
	s_mov_b32 s17, -1
	s_cselect_b32 s15, -1, 0
	s_andn2_b32 s0, s0, exec_lo
	s_and_b32 s15, s15, exec_lo
	s_or_b32 s0, s0, s15
	s_branch .LBB14_1030
.LBB14_1029:
	s_mov_b32 s17, 0
.LBB14_1030:
	s_andn2_b32 s12, s12, exec_lo
	s_and_b32 s0, s0, exec_lo
	s_and_b32 s15, s16, exec_lo
	;; [unrolled: 1-line block ×3, first 2 shown]
	s_or_b32 s12, s12, s0
	s_or_b32 exec_lo, exec_lo, s14
	s_and_saveexec_b32 s0, s12
	s_cbranch_execz .LBB14_959
.LBB14_1031:
	s_or_b32 s13, s13, exec_lo
	s_andn2_b32 s16, s16, exec_lo
	s_trap 2
	s_or_b32 exec_lo, exec_lo, s0
	s_and_saveexec_b32 s0, s16
	s_xor_b32 s0, exec_lo, s0
	s_cbranch_execnz .LBB14_960
.LBB14_1032:
	s_or_b32 exec_lo, exec_lo, s0
	s_and_saveexec_b32 s0, s15
	s_xor_b32 s0, exec_lo, s0
	s_cbranch_execz .LBB14_1070
.LBB14_1033:
	s_sext_i32_i16 s14, s1
	s_mov_b32 s12, -1
	s_cmp_lt_i32 s14, 5
	s_cbranch_scc1 .LBB14_1054
; %bb.1034:
	s_cmp_lt_i32 s14, 8
	s_cbranch_scc1 .LBB14_1044
; %bb.1035:
	;; [unrolled: 3-line block ×3, first 2 shown]
	s_cmp_gt_i32 s14, 9
	s_cbranch_scc0 .LBB14_1038
; %bb.1037:
	s_waitcnt vmcnt(0)
	v_cvt_f64_f32_e32 v[4:5], v0
	v_mov_b32_e32 v6, 0
	s_mov_b32 s12, 0
	v_mov_b32_e32 v7, v6
	global_store_dwordx4 v[2:3], v[4:7], off
.LBB14_1038:
	s_andn2_b32 vcc_lo, exec_lo, s12
	s_cbranch_vccnz .LBB14_1040
; %bb.1039:
	v_mov_b32_e32 v1, 0
	s_waitcnt vmcnt(0)
	global_store_dwordx2 v[2:3], v[0:1], off
.LBB14_1040:
	s_mov_b32 s12, 0
.LBB14_1041:
	s_andn2_b32 vcc_lo, exec_lo, s12
	s_cbranch_vccnz .LBB14_1043
; %bb.1042:
	v_cvt_f16_f32_e32 v1, v0
	v_and_b32_e32 v1, 0xffff, v1
	s_waitcnt vmcnt(0)
	global_store_dword v[2:3], v1, off
.LBB14_1043:
	s_mov_b32 s12, 0
.LBB14_1044:
	s_andn2_b32 vcc_lo, exec_lo, s12
	s_cbranch_vccnz .LBB14_1053
; %bb.1045:
	s_sext_i32_i16 s14, s1
	s_mov_b32 s12, -1
	s_cmp_lt_i32 s14, 6
	s_cbranch_scc1 .LBB14_1051
; %bb.1046:
	s_cmp_gt_i32 s14, 6
	s_cbranch_scc0 .LBB14_1048
; %bb.1047:
	s_waitcnt vmcnt(0)
	v_cvt_f64_f32_e32 v[4:5], v0
	s_mov_b32 s12, 0
	global_store_dwordx2 v[2:3], v[4:5], off
.LBB14_1048:
	s_andn2_b32 vcc_lo, exec_lo, s12
	s_cbranch_vccnz .LBB14_1050
; %bb.1049:
	s_waitcnt vmcnt(0)
	global_store_dword v[2:3], v0, off
.LBB14_1050:
	s_mov_b32 s12, 0
.LBB14_1051:
	s_andn2_b32 vcc_lo, exec_lo, s12
	s_cbranch_vccnz .LBB14_1053
; %bb.1052:
	v_cvt_f16_f32_e32 v1, v0
	s_waitcnt vmcnt(0)
	global_store_short v[2:3], v1, off
.LBB14_1053:
	s_mov_b32 s12, 0
.LBB14_1054:
	s_andn2_b32 vcc_lo, exec_lo, s12
	s_cbranch_vccnz .LBB14_1070
; %bb.1055:
	s_sext_i32_i16 s14, s1
	s_mov_b32 s12, -1
	s_cmp_lt_i32 s14, 2
	s_cbranch_scc1 .LBB14_1065
; %bb.1056:
	s_cmp_lt_i32 s14, 3
	s_cbranch_scc1 .LBB14_1062
; %bb.1057:
	s_cmp_gt_i32 s14, 3
	s_cbranch_scc0 .LBB14_1059
; %bb.1058:
	v_trunc_f32_e32 v1, v0
	s_mov_b32 s12, 0
	s_waitcnt vmcnt(0)
	v_mul_f32_e64 v4, 0x2f800000, |v1|
	v_floor_f32_e32 v4, v4
	v_fma_f32 v5, 0xcf800000, v4, |v1|
	v_ashrrev_i32_e32 v1, 31, v1
	v_cvt_u32_f32_e32 v4, v4
	v_cvt_u32_f32_e32 v5, v5
	v_xor_b32_e32 v6, v4, v1
	v_xor_b32_e32 v5, v5, v1
	v_sub_co_u32 v4, vcc_lo, v5, v1
	v_sub_co_ci_u32_e64 v5, null, v6, v1, vcc_lo
	global_store_dwordx2 v[2:3], v[4:5], off
.LBB14_1059:
	s_andn2_b32 vcc_lo, exec_lo, s12
	s_cbranch_vccnz .LBB14_1061
; %bb.1060:
	v_cvt_i32_f32_e32 v1, v0
	s_waitcnt vmcnt(0)
	global_store_dword v[2:3], v1, off
.LBB14_1061:
	s_mov_b32 s12, 0
.LBB14_1062:
	s_andn2_b32 vcc_lo, exec_lo, s12
	s_cbranch_vccnz .LBB14_1064
; %bb.1063:
	v_cvt_i32_f32_e32 v1, v0
	s_waitcnt vmcnt(0)
	global_store_short v[2:3], v1, off
.LBB14_1064:
	s_mov_b32 s12, 0
.LBB14_1065:
	s_andn2_b32 vcc_lo, exec_lo, s12
	s_cbranch_vccnz .LBB14_1070
; %bb.1066:
	s_sext_i32_i16 s1, s1
	s_cmp_gt_i32 s1, 0
	s_mov_b32 s1, -1
	s_cbranch_scc0 .LBB14_1068
; %bb.1067:
	v_cvt_i32_f32_e32 v1, v0
	s_mov_b32 s1, 0
	s_waitcnt vmcnt(0)
	global_store_byte v[2:3], v1, off
.LBB14_1068:
	s_andn2_b32 vcc_lo, exec_lo, s1
	s_cbranch_vccnz .LBB14_1070
; %bb.1069:
	v_trunc_f32_e32 v0, v0
	v_mul_f32_e64 v1, 0x2f800000, |v0|
	v_floor_f32_e32 v1, v1
	v_fma_f32 v1, 0xcf800000, v1, |v0|
	v_ashrrev_i32_e32 v0, 31, v0
	v_cvt_u32_f32_e32 v1, v1
	v_xor_b32_e32 v1, v1, v0
	v_sub_nc_u32_e32 v0, v1, v0
	s_waitcnt vmcnt(0)
	global_store_byte v[2:3], v0, off
.LBB14_1070:
	s_or_b32 exec_lo, exec_lo, s0
	s_and_b32 s12, s13, exec_lo
                                        ; implicit-def: $vgpr7
.LBB14_1071:
	s_or_saveexec_b32 s7, s7
	s_mov_b32 s0, 0
                                        ; implicit-def: $sgpr1
                                        ; implicit-def: $vgpr0_vgpr1
                                        ; implicit-def: $vgpr6
	s_xor_b32 exec_lo, exec_lo, s7
	s_cbranch_execz .LBB14_1708
; %bb.1072:
	s_waitcnt vmcnt(0)
	v_mul_lo_u32 v2, s3, v7
	s_and_b32 s6, 0xffff, s6
	s_cmp_lt_i32 s6, 11
	v_ashrrev_i32_e32 v1, 31, v2
	v_add_co_u32 v0, vcc_lo, s10, v2
	v_add_co_ci_u32_e64 v1, null, s11, v1, vcc_lo
	s_cbranch_scc1 .LBB14_1079
; %bb.1073:
	s_cmp_gt_i32 s6, 25
	s_mov_b32 s1, 0
	s_cbranch_scc0 .LBB14_1081
; %bb.1074:
	s_cmp_gt_i32 s6, 28
	s_cbranch_scc0 .LBB14_1082
; %bb.1075:
	s_cmp_gt_i32 s6, 43
	;; [unrolled: 3-line block ×3, first 2 shown]
	s_cbranch_scc0 .LBB14_1084
; %bb.1077:
	s_cmp_eq_u32 s6, 46
	s_cbranch_scc0 .LBB14_1087
; %bb.1078:
	global_load_dword v3, v[0:1], off
	s_mov_b32 s13, -1
	s_waitcnt vmcnt(0)
	v_lshlrev_b32_e32 v3, 16, v3
	s_branch .LBB14_1089
.LBB14_1079:
	s_mov_b32 s13, 0
	s_mov_b32 s5, s12
                                        ; implicit-def: $vgpr3
	s_cbranch_execnz .LBB14_1152
.LBB14_1080:
	s_andn2_b32 vcc_lo, exec_lo, s13
	s_cbranch_vccz .LBB14_1197
	s_branch .LBB14_1706
.LBB14_1081:
	s_mov_b32 s13, 0
                                        ; implicit-def: $vgpr3
	s_cbranch_execnz .LBB14_1117
	s_branch .LBB14_1148
.LBB14_1082:
	s_mov_b32 s5, -1
	s_mov_b32 s13, 0
                                        ; implicit-def: $vgpr3
	s_branch .LBB14_1098
.LBB14_1083:
	s_mov_b32 s13, 0
                                        ; implicit-def: $vgpr3
	s_cbranch_execnz .LBB14_1094
	s_branch .LBB14_1097
.LBB14_1084:
	s_mov_b32 s5, -1
	s_branch .LBB14_1088
.LBB14_1085:
	s_andn2_saveexec_b32 s18, s18
	s_cbranch_execz .LBB14_984
.LBB14_1086:
	v_add_f32_e64 v1, 0x46000000, |v0|
	s_andn2_b32 s17, s17, exec_lo
	v_and_b32_e32 v1, 0xff, v1
	v_cmp_ne_u32_e32 vcc_lo, 0, v1
	s_and_b32 s19, vcc_lo, exec_lo
	s_or_b32 s17, s17, s19
	s_or_b32 exec_lo, exec_lo, s18
	v_mov_b32_e32 v4, 0
	s_and_saveexec_b32 s18, s17
	s_cbranch_execnz .LBB14_985
	s_branch .LBB14_986
.LBB14_1087:
	s_mov_b32 s0, -1
.LBB14_1088:
	s_mov_b32 s13, 0
                                        ; implicit-def: $vgpr3
.LBB14_1089:
	s_and_b32 vcc_lo, exec_lo, s5
	s_cbranch_vccz .LBB14_1092
; %bb.1090:
	s_cmp_eq_u32 s6, 44
	s_cbranch_scc0 .LBB14_1093
; %bb.1091:
	global_load_ubyte v3, v[0:1], off
	s_mov_b32 s0, 0
	s_mov_b32 s13, -1
	s_waitcnt vmcnt(0)
	v_lshlrev_b32_e32 v4, 23, v3
	v_cmp_ne_u32_e32 vcc_lo, 0xff, v3
	v_cndmask_b32_e32 v4, 0x7f800001, v4, vcc_lo
	v_cmp_ne_u32_e32 vcc_lo, 0, v3
	v_cndmask_b32_e32 v3, 0x400000, v4, vcc_lo
.LBB14_1092:
	s_branch .LBB14_1097
.LBB14_1093:
	s_mov_b32 s0, -1
                                        ; implicit-def: $vgpr3
	s_branch .LBB14_1097
.LBB14_1094:
	s_cmp_eq_u32 s6, 29
	s_cbranch_scc0 .LBB14_1096
; %bb.1095:
	global_load_dwordx2 v[3:4], v[0:1], off
	s_mov_b32 s0, 0
	s_mov_b32 s13, -1
	s_mov_b32 s5, 0
	s_waitcnt vmcnt(0)
	v_ffbh_u32_e32 v5, v4
	v_min_u32_e32 v5, 32, v5
	v_lshlrev_b64 v[3:4], v5, v[3:4]
	v_min_u32_e32 v3, 1, v3
	v_or_b32_e32 v3, v4, v3
	v_sub_nc_u32_e32 v4, 32, v5
	v_cvt_f32_u32_e32 v3, v3
	v_ldexp_f32 v3, v3, v4
	s_branch .LBB14_1098
.LBB14_1096:
	s_mov_b32 s0, -1
                                        ; implicit-def: $vgpr3
.LBB14_1097:
	s_mov_b32 s5, 0
.LBB14_1098:
	s_and_b32 vcc_lo, exec_lo, s5
	s_cbranch_vccz .LBB14_1116
; %bb.1099:
	s_cmp_lt_i32 s6, 27
	s_cbranch_scc1 .LBB14_1102
; %bb.1100:
	s_cmp_gt_i32 s6, 27
	s_cbranch_scc0 .LBB14_1103
; %bb.1101:
	global_load_dword v3, v[0:1], off
	s_mov_b32 s5, 0
	s_waitcnt vmcnt(0)
	v_cvt_f32_u32_e32 v3, v3
	s_branch .LBB14_1104
.LBB14_1102:
	s_mov_b32 s5, -1
                                        ; implicit-def: $vgpr3
	s_branch .LBB14_1107
.LBB14_1103:
	s_mov_b32 s5, -1
                                        ; implicit-def: $vgpr3
.LBB14_1104:
	s_andn2_b32 vcc_lo, exec_lo, s5
	s_cbranch_vccnz .LBB14_1106
; %bb.1105:
	global_load_ushort v3, v[0:1], off
	s_waitcnt vmcnt(0)
	v_cvt_f32_u32_e32 v3, v3
.LBB14_1106:
	s_mov_b32 s5, 0
.LBB14_1107:
	s_andn2_b32 vcc_lo, exec_lo, s5
	s_cbranch_vccnz .LBB14_1115
; %bb.1108:
	global_load_ubyte v4, v[0:1], off
	s_mov_b32 s5, 0
	s_mov_b32 s13, exec_lo
	s_waitcnt vmcnt(0)
	v_cmpx_lt_i16_e32 0x7f, v4
	s_xor_b32 s13, exec_lo, s13
	s_cbranch_execz .LBB14_1128
; %bb.1109:
	s_mov_b32 s5, -1
	s_mov_b32 s14, exec_lo
	v_cmpx_eq_u16_e32 0x80, v4
; %bb.1110:
	s_xor_b32 s5, exec_lo, -1
; %bb.1111:
	s_or_b32 exec_lo, exec_lo, s14
	s_and_b32 s5, s5, exec_lo
	s_or_saveexec_b32 s13, s13
	v_mov_b32_e32 v3, 0x7f800001
	s_xor_b32 exec_lo, exec_lo, s13
	s_cbranch_execnz .LBB14_1129
.LBB14_1112:
	s_or_b32 exec_lo, exec_lo, s13
	s_and_saveexec_b32 s13, s5
	s_cbranch_execz .LBB14_1114
.LBB14_1113:
	v_and_b32_e32 v3, 0xffff, v4
	v_lshlrev_b32_e32 v4, 24, v4
	v_and_b32_e32 v5, 7, v3
	v_bfe_u32 v9, v3, 3, 4
	v_and_b32_e32 v4, 0x80000000, v4
	v_ffbh_u32_e32 v6, v5
	v_cmp_eq_u32_e32 vcc_lo, 0, v9
	v_min_u32_e32 v6, 32, v6
	v_subrev_nc_u32_e32 v8, 28, v6
	v_sub_nc_u32_e32 v6, 29, v6
	v_lshlrev_b32_e32 v3, v8, v3
	v_cndmask_b32_e32 v6, v9, v6, vcc_lo
	v_and_b32_e32 v3, 7, v3
	v_cndmask_b32_e32 v3, v5, v3, vcc_lo
	v_lshl_add_u32 v5, v6, 23, 0x3b800000
	v_lshlrev_b32_e32 v3, 20, v3
	v_or3_b32 v3, v4, v5, v3
.LBB14_1114:
	s_or_b32 exec_lo, exec_lo, s13
.LBB14_1115:
	s_mov_b32 s13, -1
.LBB14_1116:
	s_branch .LBB14_1148
.LBB14_1117:
	s_cmp_gt_i32 s6, 22
	s_cbranch_scc0 .LBB14_1127
; %bb.1118:
	s_cmp_lt_i32 s6, 24
	s_cbranch_scc1 .LBB14_1130
; %bb.1119:
	s_cmp_gt_i32 s6, 24
	s_cbranch_scc0 .LBB14_1131
; %bb.1120:
	global_load_ubyte v4, v[0:1], off
	s_mov_b32 s5, exec_lo
	s_waitcnt vmcnt(0)
	v_cmpx_lt_i16_e32 0x7f, v4
	s_xor_b32 s5, exec_lo, s5
	s_cbranch_execz .LBB14_1142
; %bb.1121:
	s_mov_b32 s1, -1
	s_mov_b32 s13, exec_lo
	v_cmpx_eq_u16_e32 0x80, v4
; %bb.1122:
	s_xor_b32 s1, exec_lo, -1
; %bb.1123:
	s_or_b32 exec_lo, exec_lo, s13
	s_and_b32 s1, s1, exec_lo
	s_or_saveexec_b32 s5, s5
	v_mov_b32_e32 v3, 0x7f800001
	s_xor_b32 exec_lo, exec_lo, s5
	s_cbranch_execnz .LBB14_1143
.LBB14_1124:
	s_or_b32 exec_lo, exec_lo, s5
	s_and_saveexec_b32 s5, s1
	s_cbranch_execz .LBB14_1126
.LBB14_1125:
	v_and_b32_e32 v3, 0xffff, v4
	v_lshlrev_b32_e32 v4, 24, v4
	v_and_b32_e32 v5, 3, v3
	v_bfe_u32 v9, v3, 2, 5
	v_and_b32_e32 v4, 0x80000000, v4
	v_ffbh_u32_e32 v6, v5
	v_cmp_eq_u32_e32 vcc_lo, 0, v9
	v_min_u32_e32 v6, 32, v6
	v_subrev_nc_u32_e32 v8, 29, v6
	v_sub_nc_u32_e32 v6, 30, v6
	v_lshlrev_b32_e32 v3, v8, v3
	v_cndmask_b32_e32 v6, v9, v6, vcc_lo
	v_and_b32_e32 v3, 3, v3
	v_cndmask_b32_e32 v3, v5, v3, vcc_lo
	v_lshl_add_u32 v5, v6, 23, 0x37800000
	v_lshlrev_b32_e32 v3, 21, v3
	v_or3_b32 v3, v4, v5, v3
.LBB14_1126:
	s_or_b32 exec_lo, exec_lo, s5
	s_mov_b32 s1, 0
	s_branch .LBB14_1132
.LBB14_1127:
                                        ; implicit-def: $vgpr3
	s_mov_b32 s1, 0
	s_branch .LBB14_1138
.LBB14_1128:
	s_or_saveexec_b32 s13, s13
	v_mov_b32_e32 v3, 0x7f800001
	s_xor_b32 exec_lo, exec_lo, s13
	s_cbranch_execz .LBB14_1112
.LBB14_1129:
	v_cmp_ne_u16_e32 vcc_lo, 0, v4
	v_mov_b32_e32 v3, 0
	s_andn2_b32 s5, s5, exec_lo
	s_and_b32 s14, vcc_lo, exec_lo
	s_or_b32 s5, s5, s14
	s_or_b32 exec_lo, exec_lo, s13
	s_and_saveexec_b32 s13, s5
	s_cbranch_execnz .LBB14_1113
	s_branch .LBB14_1114
.LBB14_1130:
	s_mov_b32 s1, -1
                                        ; implicit-def: $vgpr3
	s_branch .LBB14_1135
.LBB14_1131:
	s_mov_b32 s1, -1
                                        ; implicit-def: $vgpr3
.LBB14_1132:
	s_and_b32 vcc_lo, exec_lo, s1
	s_cbranch_vccz .LBB14_1134
; %bb.1133:
	global_load_ubyte v3, v[0:1], off
	s_waitcnt vmcnt(0)
	v_lshlrev_b32_e32 v3, 24, v3
	v_and_b32_e32 v4, 0x7f000000, v3
	v_ffbh_u32_e32 v5, v4
	v_add_nc_u32_e32 v8, 0x1000000, v4
	v_cmp_ne_u32_e32 vcc_lo, 0, v4
	v_min_u32_e32 v5, 32, v5
	v_sub_nc_u32_e64 v5, v5, 4 clamp
	v_lshlrev_b32_e32 v6, v5, v4
	v_lshlrev_b32_e32 v5, 23, v5
	v_lshrrev_b32_e32 v6, 4, v6
	v_sub_nc_u32_e32 v5, v6, v5
	v_ashrrev_i32_e32 v6, 8, v8
	v_add_nc_u32_e32 v5, 0x3c000000, v5
	v_and_or_b32 v5, 0x7f800000, v6, v5
	v_cndmask_b32_e32 v4, 0, v5, vcc_lo
	v_and_or_b32 v3, 0x80000000, v3, v4
.LBB14_1134:
	s_mov_b32 s1, 0
.LBB14_1135:
	s_andn2_b32 vcc_lo, exec_lo, s1
	s_cbranch_vccnz .LBB14_1137
; %bb.1136:
	global_load_ubyte v3, v[0:1], off
	s_waitcnt vmcnt(0)
	v_lshlrev_b32_e32 v4, 25, v3
	v_lshlrev_b16 v3, 8, v3
	v_lshrrev_b32_e32 v5, 4, v4
	v_and_or_b32 v6, 0x7f00, v3, 0.5
	v_cmp_gt_u32_e32 vcc_lo, 0x8000000, v4
	v_bfe_i32 v3, v3, 0, 16
	v_or_b32_e32 v5, 0x70000000, v5
	v_add_f32_e32 v6, -0.5, v6
	v_mul_f32_e32 v5, 0x7800000, v5
	v_cndmask_b32_e32 v4, v5, v6, vcc_lo
	v_and_or_b32 v3, 0x80000000, v3, v4
.LBB14_1137:
	s_mov_b32 s13, -1
	s_mov_b32 s1, 0
	s_cbranch_execnz .LBB14_1148
.LBB14_1138:
	s_cmp_gt_i32 s6, 14
	s_cbranch_scc0 .LBB14_1141
; %bb.1139:
	s_cmp_eq_u32 s6, 15
	s_cbranch_scc0 .LBB14_1144
; %bb.1140:
	global_load_ushort v3, v[0:1], off
	s_mov_b32 s0, 0
	s_mov_b32 s13, -1
	s_waitcnt vmcnt(0)
	v_lshlrev_b32_e32 v3, 16, v3
	s_branch .LBB14_1146
.LBB14_1141:
	s_mov_b32 s1, -1
	s_branch .LBB14_1145
.LBB14_1142:
	s_or_saveexec_b32 s5, s5
	v_mov_b32_e32 v3, 0x7f800001
	s_xor_b32 exec_lo, exec_lo, s5
	s_cbranch_execz .LBB14_1124
.LBB14_1143:
	v_cmp_ne_u16_e32 vcc_lo, 0, v4
	v_mov_b32_e32 v3, 0
	s_andn2_b32 s1, s1, exec_lo
	s_and_b32 s13, vcc_lo, exec_lo
	s_or_b32 s1, s1, s13
	s_or_b32 exec_lo, exec_lo, s5
	s_and_saveexec_b32 s5, s1
	s_cbranch_execnz .LBB14_1125
	s_branch .LBB14_1126
.LBB14_1144:
	s_mov_b32 s0, -1
.LBB14_1145:
                                        ; implicit-def: $vgpr3
.LBB14_1146:
	s_and_b32 vcc_lo, exec_lo, s1
	s_mov_b32 s1, 0
	s_cbranch_vccz .LBB14_1148
; %bb.1147:
	s_cmp_lg_u32 s6, 11
	s_mov_b32 s1, -1
	s_cselect_b32 s0, -1, 0
.LBB14_1148:
	s_and_b32 vcc_lo, exec_lo, s0
	s_mov_b32 s5, s12
	s_cbranch_vccnz .LBB14_1219
; %bb.1149:
	s_andn2_b32 vcc_lo, exec_lo, s1
	s_cbranch_vccnz .LBB14_1151
.LBB14_1150:
	global_load_ubyte v3, v[0:1], off
	s_mov_b32 s13, -1
	s_waitcnt vmcnt(0)
	v_cmp_ne_u16_e32 vcc_lo, 0, v3
	v_cndmask_b32_e64 v3, 0, 1.0, vcc_lo
.LBB14_1151:
	s_branch .LBB14_1080
.LBB14_1152:
	s_cmp_lt_i32 s6, 5
	s_cbranch_scc1 .LBB14_1157
; %bb.1153:
	s_cmp_lt_i32 s6, 8
	s_cbranch_scc1 .LBB14_1158
; %bb.1154:
	;; [unrolled: 3-line block ×3, first 2 shown]
	s_cmp_gt_i32 s6, 9
	s_cbranch_scc0 .LBB14_1160
; %bb.1156:
	global_load_dwordx2 v[3:4], v[0:1], off
	s_mov_b32 s0, 0
	s_waitcnt vmcnt(0)
	v_cvt_f32_f64_e32 v3, v[3:4]
	s_branch .LBB14_1161
.LBB14_1157:
                                        ; implicit-def: $vgpr3
	s_branch .LBB14_1178
.LBB14_1158:
                                        ; implicit-def: $vgpr3
	s_branch .LBB14_1167
.LBB14_1159:
	s_mov_b32 s0, -1
                                        ; implicit-def: $vgpr3
	s_branch .LBB14_1164
.LBB14_1160:
	s_mov_b32 s0, -1
                                        ; implicit-def: $vgpr3
.LBB14_1161:
	s_andn2_b32 vcc_lo, exec_lo, s0
	s_cbranch_vccnz .LBB14_1163
; %bb.1162:
	global_load_dword v3, v[0:1], off
.LBB14_1163:
	s_mov_b32 s0, 0
.LBB14_1164:
	s_andn2_b32 vcc_lo, exec_lo, s0
	s_cbranch_vccnz .LBB14_1166
; %bb.1165:
	global_load_dword v3, v[0:1], off
	s_waitcnt vmcnt(0)
	v_cvt_f32_f16_e32 v3, v3
.LBB14_1166:
	s_cbranch_execnz .LBB14_1177
.LBB14_1167:
	s_cmp_lt_i32 s6, 6
	s_cbranch_scc1 .LBB14_1170
; %bb.1168:
	s_cmp_gt_i32 s6, 6
	s_cbranch_scc0 .LBB14_1171
; %bb.1169:
	global_load_dwordx2 v[3:4], v[0:1], off
	s_mov_b32 s0, 0
	s_waitcnt vmcnt(0)
	v_cvt_f32_f64_e32 v3, v[3:4]
	s_branch .LBB14_1172
.LBB14_1170:
	s_mov_b32 s0, -1
                                        ; implicit-def: $vgpr3
	s_branch .LBB14_1175
.LBB14_1171:
	s_mov_b32 s0, -1
                                        ; implicit-def: $vgpr3
.LBB14_1172:
	s_andn2_b32 vcc_lo, exec_lo, s0
	s_cbranch_vccnz .LBB14_1174
; %bb.1173:
	global_load_dword v3, v[0:1], off
.LBB14_1174:
	s_mov_b32 s0, 0
.LBB14_1175:
	s_andn2_b32 vcc_lo, exec_lo, s0
	s_cbranch_vccnz .LBB14_1177
; %bb.1176:
	global_load_ushort v3, v[0:1], off
	s_waitcnt vmcnt(0)
	v_cvt_f32_f16_e32 v3, v3
.LBB14_1177:
	s_cbranch_execnz .LBB14_1196
.LBB14_1178:
	s_cmp_lt_i32 s6, 2
	s_cbranch_scc1 .LBB14_1182
; %bb.1179:
	s_cmp_lt_i32 s6, 3
	s_cbranch_scc1 .LBB14_1183
; %bb.1180:
	s_cmp_gt_i32 s6, 3
	s_cbranch_scc0 .LBB14_1184
; %bb.1181:
	global_load_dwordx2 v[3:4], v[0:1], off
	s_mov_b32 s0, 0
	s_waitcnt vmcnt(0)
	v_xor_b32_e32 v5, v3, v4
	v_ffbh_i32_e32 v6, v4
	v_ashrrev_i32_e32 v5, 31, v5
	v_add_nc_u32_e32 v6, -1, v6
	v_add_nc_u32_e32 v5, 32, v5
	v_min_u32_e32 v5, v6, v5
	v_lshlrev_b64 v[3:4], v5, v[3:4]
	v_min_u32_e32 v3, 1, v3
	v_or_b32_e32 v3, v4, v3
	v_sub_nc_u32_e32 v4, 32, v5
	v_cvt_f32_i32_e32 v3, v3
	v_ldexp_f32 v3, v3, v4
	s_branch .LBB14_1185
.LBB14_1182:
                                        ; implicit-def: $vgpr3
	s_branch .LBB14_1191
.LBB14_1183:
	s_mov_b32 s0, -1
                                        ; implicit-def: $vgpr3
	s_branch .LBB14_1188
.LBB14_1184:
	s_mov_b32 s0, -1
                                        ; implicit-def: $vgpr3
.LBB14_1185:
	s_andn2_b32 vcc_lo, exec_lo, s0
	s_cbranch_vccnz .LBB14_1187
; %bb.1186:
	global_load_dword v3, v[0:1], off
	s_waitcnt vmcnt(0)
	v_cvt_f32_i32_e32 v3, v3
.LBB14_1187:
	s_mov_b32 s0, 0
.LBB14_1188:
	s_andn2_b32 vcc_lo, exec_lo, s0
	s_cbranch_vccnz .LBB14_1190
; %bb.1189:
	global_load_sshort v3, v[0:1], off
	s_waitcnt vmcnt(0)
	v_cvt_f32_i32_e32 v3, v3
.LBB14_1190:
	s_cbranch_execnz .LBB14_1196
.LBB14_1191:
	s_cmp_gt_i32 s6, 0
	s_mov_b32 s0, 0
	s_cbranch_scc0 .LBB14_1193
; %bb.1192:
	global_load_sbyte v3, v[0:1], off
	s_waitcnt vmcnt(0)
	v_cvt_f32_i32_e32 v3, v3
	s_branch .LBB14_1194
.LBB14_1193:
	s_mov_b32 s0, -1
                                        ; implicit-def: $vgpr3
.LBB14_1194:
	s_andn2_b32 vcc_lo, exec_lo, s0
	s_cbranch_vccnz .LBB14_1196
; %bb.1195:
	global_load_ubyte v0, v[0:1], off
	s_waitcnt vmcnt(0)
	v_cvt_f32_ubyte0_e32 v3, v0
.LBB14_1196:
.LBB14_1197:
	v_mov_b32_e32 v0, 0
	s_mov_b32 s13, exec_lo
	s_waitcnt vmcnt(0)
	v_cmpx_neq_f32_e64 0x7f800000, |v3|
	s_cbranch_execz .LBB14_1207
; %bb.1198:
                                        ; implicit-def: $vgpr0
	s_mov_b32 s1, exec_lo
	v_cmpx_nlt_f32_e64 |v3|, 0.5
	s_xor_b32 s14, exec_lo, s1
	s_cbranch_execz .LBB14_1204
; %bb.1199:
	v_and_b32_e32 v0, 0x7fffffff, v3
                                        ; implicit-def: $vgpr4
                                        ; implicit-def: $vgpr1
	s_mov_b32 s1, exec_lo
	v_cmpx_ngt_f32_e64 0x48000000, |v3|
	s_xor_b32 s15, exec_lo, s1
	s_cbranch_execz .LBB14_1201
; %bb.1200:
	s_mov_b32 s0, 0x7fffff
	v_mov_b32_e32 v6, 0
	v_and_or_b32 v1, v0, s0, 0x800000
	v_lshrrev_b32_e32 v12, 23, v0
	v_mad_u64_u32 v[4:5], null, 0xfe5163ab, v1, 0
	v_add_nc_u32_e32 v13, 0xffffff88, v12
	v_cmp_lt_u32_e32 vcc_lo, 63, v13
	v_mad_u64_u32 v[8:9], null, 0x3c439041, v1, v[5:6]
	v_cndmask_b32_e64 v14, 0, 0xffffffc0, vcc_lo
	v_mov_b32_e32 v5, v9
	v_add_nc_u32_e32 v14, v14, v13
	v_mad_u64_u32 v[9:10], null, 0xdb629599, v1, v[5:6]
	v_cmp_lt_u32_e64 s0, 31, v14
	v_cndmask_b32_e64 v15, 0, 0xffffffe0, s0
	v_mov_b32_e32 v5, v10
	v_cndmask_b32_e32 v4, v9, v4, vcc_lo
	v_mad_u64_u32 v[10:11], null, 0xf534ddc0, v1, v[5:6]
	v_mov_b32_e32 v5, v11
	v_cndmask_b32_e32 v8, v10, v8, vcc_lo
	v_mad_u64_u32 v[11:12], null, 0xfc2757d1, v1, v[5:6]
	v_cndmask_b32_e64 v4, v8, v4, s0
	v_mov_b32_e32 v5, v12
	v_mad_u64_u32 v[12:13], null, 0x4e441529, v1, v[5:6]
	v_mov_b32_e32 v5, v13
	v_add_nc_u32_e32 v13, v15, v14
	v_cndmask_b32_e32 v14, v12, v10, vcc_lo
	v_mad_u64_u32 v[5:6], null, 0xa2f9836e, v1, v[5:6]
	v_cmp_lt_u32_e64 s1, 31, v13
	v_cndmask_b32_e64 v1, 0, 0xffffffe0, s1
	v_cndmask_b32_e32 v5, v5, v11, vcc_lo
	v_cndmask_b32_e32 v6, v6, v12, vcc_lo
	;; [unrolled: 1-line block ×3, first 2 shown]
	v_add_nc_u32_e32 v1, v1, v13
	v_cndmask_b32_e64 v10, v5, v14, s0
	v_cndmask_b32_e64 v5, v6, v5, s0
	;; [unrolled: 1-line block ×4, first 2 shown]
	v_sub_nc_u32_e32 v12, 32, v1
	v_cmp_eq_u32_e32 vcc_lo, 0, v1
	v_cndmask_b32_e64 v5, v5, v10, s1
	v_cndmask_b32_e64 v10, v10, v6, s1
	;; [unrolled: 1-line block ×4, first 2 shown]
	v_alignbit_b32 v13, v5, v10, v12
	v_alignbit_b32 v9, v10, v6, v12
	;; [unrolled: 1-line block ×3, first 2 shown]
	v_cndmask_b32_e32 v1, v13, v5, vcc_lo
	v_cndmask_b32_e32 v5, v9, v10, vcc_lo
	;; [unrolled: 1-line block ×3, first 2 shown]
	v_bfe_u32 v8, v1, 29, 1
	v_alignbit_b32 v9, v1, v5, 30
	v_alignbit_b32 v5, v5, v6, 30
	;; [unrolled: 1-line block ×3, first 2 shown]
	v_sub_nc_u32_e32 v10, 0, v8
	v_xor_b32_e32 v9, v9, v10
	v_xor_b32_e32 v5, v5, v10
	;; [unrolled: 1-line block ×3, first 2 shown]
	v_lshrrev_b32_e32 v10, 29, v1
	v_ffbh_u32_e32 v11, v9
	v_min_u32_e32 v11, 32, v11
	v_sub_nc_u32_e32 v6, 31, v11
	v_lshlrev_b32_e32 v12, 23, v11
	v_alignbit_b32 v9, v9, v5, v6
	v_alignbit_b32 v4, v5, v4, v6
	v_lshlrev_b32_e32 v5, 31, v10
	v_alignbit_b32 v6, v9, v4, 9
	v_or_b32_e32 v10, 0.5, v5
	v_lshrrev_b32_e32 v9, 9, v9
	v_or_b32_e32 v5, 0x33000000, v5
	v_ffbh_u32_e32 v13, v6
	v_sub_nc_u32_e32 v10, v10, v12
	v_min_u32_e32 v12, 32, v13
	v_or_b32_e32 v9, v9, v10
	v_not_b32_e32 v10, v12
	v_mul_f32_e32 v13, 0x3fc90fda, v9
	v_add_lshl_u32 v11, v12, v11, 23
	v_alignbit_b32 v4, v6, v4, v10
	v_fma_f32 v6, 0x3fc90fda, v9, -v13
	v_sub_nc_u32_e32 v5, v5, v11
	v_lshrrev_b32_e32 v4, 9, v4
	v_fmamk_f32 v6, v9, 0x33a22168, v6
	v_or_b32_e32 v4, v5, v4
	v_fmac_f32_e32 v6, 0x3fc90fda, v4
	v_lshrrev_b32_e32 v4, 30, v1
	v_add_f32_e32 v1, v13, v6
	v_add_nc_u32_e32 v4, v8, v4
.LBB14_1201:
	s_andn2_saveexec_b32 s0, s15
; %bb.1202:
	v_mul_f32_e64 v1, 0x3f22f983, |v3|
	v_rndne_f32_e32 v4, v1
	v_fma_f32 v1, 0xbfc90fda, v4, |v3|
	v_fmamk_f32 v1, v4, 0xb3a22168, v1
	v_fmamk_f32 v1, v4, 0xa7c234c4, v1
	v_cvt_i32_f32_e32 v4, v4
; %bb.1203:
	s_or_b32 exec_lo, exec_lo, s0
	v_mul_f32_e32 v5, v1, v1
	s_mov_b32 s0, 0xb94c1982
	s_mov_b32 s1, 0x37d75334
	v_and_b32_e32 v9, 1, v4
	v_lshlrev_b32_e32 v4, 30, v4
	v_fmaak_f32 v6, s0, v5, 0x3c0881c4
	v_fmaak_f32 v8, s1, v5, 0xbab64f3b
	v_xor_b32_e32 v0, v0, v3
	v_cmp_eq_u32_e32 vcc_lo, 0, v9
	v_and_b32_e32 v4, 0x80000000, v4
	v_fmaak_f32 v6, v5, v6, 0xbe2aaa9d
	v_fmaak_f32 v8, v5, v8, 0x3d2aabf7
	v_mul_f32_e32 v6, v5, v6
	v_fmaak_f32 v8, v5, v8, 0xbf000004
	v_fmac_f32_e32 v1, v1, v6
	v_fma_f32 v5, v5, v8, 1.0
	v_cndmask_b32_e32 v1, v5, v1, vcc_lo
	v_cmp_class_f32_e64 vcc_lo, v3, 0x1f8
	v_xor3_b32 v0, v0, v4, v1
	v_cndmask_b32_e32 v0, 0x7fc00000, v0, vcc_lo
	v_div_scale_f32 v1, null, v3, v3, v0
	v_rcp_f32_e32 v4, v1
	v_fma_f32 v5, -v1, v4, 1.0
	v_fmac_f32_e32 v4, v5, v4
	v_div_scale_f32 v5, vcc_lo, v0, v3, v0
	v_mul_f32_e32 v6, v5, v4
	v_fma_f32 v8, -v1, v6, v5
	v_fmac_f32_e32 v6, v8, v4
	v_fma_f32 v1, -v1, v6, v5
	v_div_fmas_f32 v1, v1, v4, v6
	v_div_fixup_f32 v0, v1, v3, v0
                                        ; implicit-def: $vgpr3
.LBB14_1204:
	s_andn2_saveexec_b32 s0, s14
	s_cbranch_execz .LBB14_1206
; %bb.1205:
	v_mul_f32_e32 v0, v3, v3
	s_mov_b32 s1, 0x2f309231
	v_fmaak_f32 v1, s1, v0, 0xb2d7322b
	v_fmaak_f32 v1, v0, v1, 0x3638ef1d
	;; [unrolled: 1-line block ×5, first 2 shown]
	v_fma_f32 v0, v0, v1, 1.0
.LBB14_1206:
	s_or_b32 exec_lo, exec_lo, s0
.LBB14_1207:
	s_or_b32 exec_lo, exec_lo, s13
	s_lshl_b32 s3, s3, 7
	s_cmp_lt_i32 s6, 11
	v_add_nc_u32_e32 v3, s3, v2
	v_ashrrev_i32_e32 v2, 31, v3
	v_add_co_u32 v1, vcc_lo, s10, v3
	v_add_co_ci_u32_e64 v2, null, s11, v2, vcc_lo
	s_cbranch_scc1 .LBB14_1214
; %bb.1208:
	s_cmp_gt_i32 s6, 25
	s_mov_b32 s1, 0
	s_cbranch_scc0 .LBB14_1216
; %bb.1209:
	s_cmp_gt_i32 s6, 28
	s_cbranch_scc0 .LBB14_1217
; %bb.1210:
	s_cmp_gt_i32 s6, 43
	s_cbranch_scc0 .LBB14_1218
; %bb.1211:
	s_cmp_gt_i32 s6, 45
	s_cbranch_scc0 .LBB14_1220
; %bb.1212:
	s_cmp_eq_u32 s6, 46
	s_mov_b32 s14, 0
	s_cbranch_scc0 .LBB14_1223
; %bb.1213:
	global_load_dword v4, v[1:2], off
	s_mov_b32 s0, 0
	s_mov_b32 s13, -1
	s_waitcnt vmcnt(0)
	v_lshlrev_b32_e32 v4, 16, v4
	s_branch .LBB14_1225
.LBB14_1214:
	s_mov_b32 s13, 0
                                        ; implicit-def: $vgpr4
	s_cbranch_execnz .LBB14_1290
.LBB14_1215:
	s_andn2_b32 vcc_lo, exec_lo, s13
	s_cbranch_vccnz .LBB14_1706
	s_branch .LBB14_1337
.LBB14_1216:
	s_mov_b32 s13, 0
	s_mov_b32 s0, 0
                                        ; implicit-def: $vgpr4
	s_cbranch_execnz .LBB14_1254
	s_branch .LBB14_1286
.LBB14_1217:
	s_mov_b32 s14, -1
	s_mov_b32 s13, 0
	s_mov_b32 s0, 0
                                        ; implicit-def: $vgpr4
	s_branch .LBB14_1235
.LBB14_1218:
	s_mov_b32 s14, -1
	s_mov_b32 s13, 0
	s_mov_b32 s0, 0
                                        ; implicit-def: $vgpr4
	s_branch .LBB14_1230
.LBB14_1219:
	s_or_b32 s5, s12, exec_lo
	s_trap 2
	s_cbranch_execz .LBB14_1150
	s_branch .LBB14_1151
.LBB14_1220:
	s_mov_b32 s14, -1
	s_mov_b32 s13, 0
	s_mov_b32 s0, 0
	s_branch .LBB14_1224
.LBB14_1221:
	s_andn2_saveexec_b32 s19, s19
	s_cbranch_execz .LBB14_996
.LBB14_1222:
	v_add_f32_e64 v1, 0x42800000, |v0|
	s_andn2_b32 s18, s18, exec_lo
	v_and_b32_e32 v1, 0xff, v1
	v_cmp_ne_u32_e32 vcc_lo, 0, v1
	s_and_b32 s20, vcc_lo, exec_lo
	s_or_b32 s18, s18, s20
	s_or_b32 exec_lo, exec_lo, s19
	v_mov_b32_e32 v4, 0
	s_and_saveexec_b32 s19, s18
	s_cbranch_execnz .LBB14_997
	s_branch .LBB14_998
.LBB14_1223:
	s_mov_b32 s0, -1
	s_mov_b32 s13, 0
.LBB14_1224:
                                        ; implicit-def: $vgpr4
.LBB14_1225:
	s_and_b32 vcc_lo, exec_lo, s14
	s_cbranch_vccz .LBB14_1229
; %bb.1226:
	s_cmp_eq_u32 s6, 44
	s_cbranch_scc0 .LBB14_1228
; %bb.1227:
	global_load_ubyte v4, v[1:2], off
	s_mov_b32 s0, 0
	s_mov_b32 s13, -1
	s_waitcnt vmcnt(0)
	v_lshlrev_b32_e32 v5, 23, v4
	v_cmp_ne_u32_e32 vcc_lo, 0xff, v4
	v_cndmask_b32_e32 v5, 0x7f800001, v5, vcc_lo
	v_cmp_ne_u32_e32 vcc_lo, 0, v4
	v_cndmask_b32_e32 v4, 0x400000, v5, vcc_lo
	s_branch .LBB14_1229
.LBB14_1228:
	s_mov_b32 s0, -1
                                        ; implicit-def: $vgpr4
.LBB14_1229:
	s_mov_b32 s14, 0
.LBB14_1230:
	s_and_b32 vcc_lo, exec_lo, s14
	s_cbranch_vccz .LBB14_1234
; %bb.1231:
	s_cmp_eq_u32 s6, 29
	s_cbranch_scc0 .LBB14_1233
; %bb.1232:
	global_load_dwordx2 v[4:5], v[1:2], off
	s_mov_b32 s0, 0
	s_mov_b32 s13, -1
	s_mov_b32 s14, 0
	s_waitcnt vmcnt(0)
	v_ffbh_u32_e32 v6, v5
	v_min_u32_e32 v6, 32, v6
	v_lshlrev_b64 v[4:5], v6, v[4:5]
	v_min_u32_e32 v4, 1, v4
	v_or_b32_e32 v4, v5, v4
	v_sub_nc_u32_e32 v5, 32, v6
	v_cvt_f32_u32_e32 v4, v4
	v_ldexp_f32 v4, v4, v5
	s_branch .LBB14_1235
.LBB14_1233:
	s_mov_b32 s0, -1
                                        ; implicit-def: $vgpr4
.LBB14_1234:
	s_mov_b32 s14, 0
.LBB14_1235:
	s_and_b32 vcc_lo, exec_lo, s14
	s_cbranch_vccz .LBB14_1253
; %bb.1236:
	s_cmp_lt_i32 s6, 27
	s_cbranch_scc1 .LBB14_1239
; %bb.1237:
	s_cmp_gt_i32 s6, 27
	s_cbranch_scc0 .LBB14_1240
; %bb.1238:
	global_load_dword v4, v[1:2], off
	s_mov_b32 s13, 0
	s_waitcnt vmcnt(0)
	v_cvt_f32_u32_e32 v4, v4
	s_branch .LBB14_1241
.LBB14_1239:
	s_mov_b32 s13, -1
                                        ; implicit-def: $vgpr4
	s_branch .LBB14_1244
.LBB14_1240:
	s_mov_b32 s13, -1
                                        ; implicit-def: $vgpr4
.LBB14_1241:
	s_andn2_b32 vcc_lo, exec_lo, s13
	s_cbranch_vccnz .LBB14_1243
; %bb.1242:
	global_load_ushort v4, v[1:2], off
	s_waitcnt vmcnt(0)
	v_cvt_f32_u32_e32 v4, v4
.LBB14_1243:
	s_mov_b32 s13, 0
.LBB14_1244:
	s_andn2_b32 vcc_lo, exec_lo, s13
	s_cbranch_vccnz .LBB14_1252
; %bb.1245:
	global_load_ubyte v5, v[1:2], off
	s_mov_b32 s13, 0
	s_mov_b32 s14, exec_lo
	s_waitcnt vmcnt(0)
	v_cmpx_lt_i16_e32 0x7f, v5
	s_xor_b32 s14, exec_lo, s14
	s_cbranch_execz .LBB14_1265
; %bb.1246:
	s_mov_b32 s13, -1
	s_mov_b32 s15, exec_lo
	v_cmpx_eq_u16_e32 0x80, v5
; %bb.1247:
	s_xor_b32 s13, exec_lo, -1
; %bb.1248:
	s_or_b32 exec_lo, exec_lo, s15
	s_and_b32 s13, s13, exec_lo
	s_or_saveexec_b32 s14, s14
	v_mov_b32_e32 v4, 0x7f800001
	s_xor_b32 exec_lo, exec_lo, s14
	s_cbranch_execnz .LBB14_1266
.LBB14_1249:
	s_or_b32 exec_lo, exec_lo, s14
	s_and_saveexec_b32 s14, s13
	s_cbranch_execz .LBB14_1251
.LBB14_1250:
	v_and_b32_e32 v4, 0xffff, v5
	v_lshlrev_b32_e32 v5, 24, v5
	v_and_b32_e32 v6, 7, v4
	v_bfe_u32 v10, v4, 3, 4
	v_and_b32_e32 v5, 0x80000000, v5
	v_ffbh_u32_e32 v8, v6
	v_cmp_eq_u32_e32 vcc_lo, 0, v10
	v_min_u32_e32 v8, 32, v8
	v_subrev_nc_u32_e32 v9, 28, v8
	v_sub_nc_u32_e32 v8, 29, v8
	v_lshlrev_b32_e32 v4, v9, v4
	v_cndmask_b32_e32 v8, v10, v8, vcc_lo
	v_and_b32_e32 v4, 7, v4
	v_cndmask_b32_e32 v4, v6, v4, vcc_lo
	v_lshl_add_u32 v6, v8, 23, 0x3b800000
	v_lshlrev_b32_e32 v4, 20, v4
	v_or3_b32 v4, v5, v6, v4
.LBB14_1251:
	s_or_b32 exec_lo, exec_lo, s14
.LBB14_1252:
	s_mov_b32 s13, -1
.LBB14_1253:
	s_branch .LBB14_1286
.LBB14_1254:
	s_cmp_gt_i32 s6, 22
	s_cbranch_scc0 .LBB14_1264
; %bb.1255:
	s_cmp_lt_i32 s6, 24
	s_cbranch_scc1 .LBB14_1267
; %bb.1256:
	s_cmp_gt_i32 s6, 24
	s_cbranch_scc0 .LBB14_1268
; %bb.1257:
	global_load_ubyte v5, v[1:2], off
	s_mov_b32 s13, exec_lo
	s_waitcnt vmcnt(0)
	v_cmpx_lt_i16_e32 0x7f, v5
	s_xor_b32 s13, exec_lo, s13
	s_cbranch_execz .LBB14_1280
; %bb.1258:
	s_mov_b32 s1, -1
	s_mov_b32 s14, exec_lo
	v_cmpx_eq_u16_e32 0x80, v5
; %bb.1259:
	s_xor_b32 s1, exec_lo, -1
; %bb.1260:
	s_or_b32 exec_lo, exec_lo, s14
	s_and_b32 s1, s1, exec_lo
	s_or_saveexec_b32 s13, s13
	v_mov_b32_e32 v4, 0x7f800001
	s_xor_b32 exec_lo, exec_lo, s13
	s_cbranch_execnz .LBB14_1281
.LBB14_1261:
	s_or_b32 exec_lo, exec_lo, s13
	s_and_saveexec_b32 s13, s1
	s_cbranch_execz .LBB14_1263
.LBB14_1262:
	v_and_b32_e32 v4, 0xffff, v5
	v_lshlrev_b32_e32 v5, 24, v5
	v_and_b32_e32 v6, 3, v4
	v_bfe_u32 v10, v4, 2, 5
	v_and_b32_e32 v5, 0x80000000, v5
	v_ffbh_u32_e32 v8, v6
	v_cmp_eq_u32_e32 vcc_lo, 0, v10
	v_min_u32_e32 v8, 32, v8
	v_subrev_nc_u32_e32 v9, 29, v8
	v_sub_nc_u32_e32 v8, 30, v8
	v_lshlrev_b32_e32 v4, v9, v4
	v_cndmask_b32_e32 v8, v10, v8, vcc_lo
	v_and_b32_e32 v4, 3, v4
	v_cndmask_b32_e32 v4, v6, v4, vcc_lo
	v_lshl_add_u32 v6, v8, 23, 0x37800000
	v_lshlrev_b32_e32 v4, 21, v4
	v_or3_b32 v4, v5, v6, v4
.LBB14_1263:
	s_or_b32 exec_lo, exec_lo, s13
	s_mov_b32 s1, 0
	s_branch .LBB14_1269
.LBB14_1264:
	s_mov_b32 s1, -1
                                        ; implicit-def: $vgpr4
	s_branch .LBB14_1275
.LBB14_1265:
	s_or_saveexec_b32 s14, s14
	v_mov_b32_e32 v4, 0x7f800001
	s_xor_b32 exec_lo, exec_lo, s14
	s_cbranch_execz .LBB14_1249
.LBB14_1266:
	v_cmp_ne_u16_e32 vcc_lo, 0, v5
	v_mov_b32_e32 v4, 0
	s_andn2_b32 s13, s13, exec_lo
	s_and_b32 s15, vcc_lo, exec_lo
	s_or_b32 s13, s13, s15
	s_or_b32 exec_lo, exec_lo, s14
	s_and_saveexec_b32 s14, s13
	s_cbranch_execnz .LBB14_1250
	s_branch .LBB14_1251
.LBB14_1267:
	s_mov_b32 s1, -1
                                        ; implicit-def: $vgpr4
	s_branch .LBB14_1272
.LBB14_1268:
	s_mov_b32 s1, -1
                                        ; implicit-def: $vgpr4
.LBB14_1269:
	s_and_b32 vcc_lo, exec_lo, s1
	s_cbranch_vccz .LBB14_1271
; %bb.1270:
	global_load_ubyte v4, v[1:2], off
	s_waitcnt vmcnt(0)
	v_lshlrev_b32_e32 v4, 24, v4
	v_and_b32_e32 v5, 0x7f000000, v4
	v_ffbh_u32_e32 v6, v5
	v_add_nc_u32_e32 v9, 0x1000000, v5
	v_cmp_ne_u32_e32 vcc_lo, 0, v5
	v_min_u32_e32 v6, 32, v6
	v_sub_nc_u32_e64 v6, v6, 4 clamp
	v_lshlrev_b32_e32 v8, v6, v5
	v_lshlrev_b32_e32 v6, 23, v6
	v_lshrrev_b32_e32 v8, 4, v8
	v_sub_nc_u32_e32 v6, v8, v6
	v_ashrrev_i32_e32 v8, 8, v9
	v_add_nc_u32_e32 v6, 0x3c000000, v6
	v_and_or_b32 v6, 0x7f800000, v8, v6
	v_cndmask_b32_e32 v5, 0, v6, vcc_lo
	v_and_or_b32 v4, 0x80000000, v4, v5
.LBB14_1271:
	s_mov_b32 s1, 0
.LBB14_1272:
	s_andn2_b32 vcc_lo, exec_lo, s1
	s_cbranch_vccnz .LBB14_1274
; %bb.1273:
	global_load_ubyte v4, v[1:2], off
	s_waitcnt vmcnt(0)
	v_lshlrev_b32_e32 v5, 25, v4
	v_lshlrev_b16 v4, 8, v4
	v_lshrrev_b32_e32 v6, 4, v5
	v_and_or_b32 v8, 0x7f00, v4, 0.5
	v_cmp_gt_u32_e32 vcc_lo, 0x8000000, v5
	v_bfe_i32 v4, v4, 0, 16
	v_or_b32_e32 v6, 0x70000000, v6
	v_add_f32_e32 v8, -0.5, v8
	v_mul_f32_e32 v6, 0x7800000, v6
	v_cndmask_b32_e32 v5, v6, v8, vcc_lo
	v_and_or_b32 v4, 0x80000000, v4, v5
.LBB14_1274:
	s_mov_b32 s1, 0
	s_mov_b32 s13, -1
.LBB14_1275:
	s_andn2_b32 vcc_lo, exec_lo, s1
	s_mov_b32 s1, 0
	s_cbranch_vccnz .LBB14_1286
; %bb.1276:
	s_cmp_gt_i32 s6, 14
	s_cbranch_scc0 .LBB14_1279
; %bb.1277:
	s_cmp_eq_u32 s6, 15
	s_cbranch_scc0 .LBB14_1282
; %bb.1278:
	global_load_ushort v4, v[1:2], off
	s_mov_b32 s0, 0
	s_mov_b32 s13, -1
	s_waitcnt vmcnt(0)
	v_lshlrev_b32_e32 v4, 16, v4
	s_branch .LBB14_1284
.LBB14_1279:
	s_mov_b32 s1, -1
	s_branch .LBB14_1283
.LBB14_1280:
	s_or_saveexec_b32 s13, s13
	v_mov_b32_e32 v4, 0x7f800001
	s_xor_b32 exec_lo, exec_lo, s13
	s_cbranch_execz .LBB14_1261
.LBB14_1281:
	v_cmp_ne_u16_e32 vcc_lo, 0, v5
	v_mov_b32_e32 v4, 0
	s_andn2_b32 s1, s1, exec_lo
	s_and_b32 s14, vcc_lo, exec_lo
	s_or_b32 s1, s1, s14
	s_or_b32 exec_lo, exec_lo, s13
	s_and_saveexec_b32 s13, s1
	s_cbranch_execnz .LBB14_1262
	s_branch .LBB14_1263
.LBB14_1282:
	s_mov_b32 s0, -1
.LBB14_1283:
                                        ; implicit-def: $vgpr4
.LBB14_1284:
	s_and_b32 vcc_lo, exec_lo, s1
	s_mov_b32 s1, 0
	s_cbranch_vccz .LBB14_1286
; %bb.1285:
	s_cmp_lg_u32 s6, 11
	s_mov_b32 s1, -1
	s_cselect_b32 s0, -1, 0
.LBB14_1286:
	s_and_b32 vcc_lo, exec_lo, s0
	s_cbranch_vccnz .LBB14_1359
; %bb.1287:
	s_andn2_b32 vcc_lo, exec_lo, s1
	s_cbranch_vccnz .LBB14_1289
.LBB14_1288:
	global_load_ubyte v4, v[1:2], off
	s_mov_b32 s13, -1
	s_waitcnt vmcnt(0)
	v_cmp_ne_u16_e32 vcc_lo, 0, v4
	v_cndmask_b32_e64 v4, 0, 1.0, vcc_lo
.LBB14_1289:
	s_branch .LBB14_1215
.LBB14_1290:
	s_cmp_lt_i32 s6, 5
	s_cbranch_scc1 .LBB14_1295
; %bb.1291:
	s_cmp_lt_i32 s6, 8
	s_cbranch_scc1 .LBB14_1296
; %bb.1292:
	;; [unrolled: 3-line block ×3, first 2 shown]
	s_cmp_gt_i32 s6, 9
	s_cbranch_scc0 .LBB14_1298
; %bb.1294:
	global_load_dwordx2 v[4:5], v[1:2], off
	s_mov_b32 s0, 0
	s_waitcnt vmcnt(0)
	v_cvt_f32_f64_e32 v4, v[4:5]
	s_branch .LBB14_1299
.LBB14_1295:
                                        ; implicit-def: $vgpr4
	s_branch .LBB14_1317
.LBB14_1296:
	s_mov_b32 s0, -1
                                        ; implicit-def: $vgpr4
	s_branch .LBB14_1305
.LBB14_1297:
	s_mov_b32 s0, -1
                                        ; implicit-def: $vgpr4
	s_branch .LBB14_1302
.LBB14_1298:
	s_mov_b32 s0, -1
                                        ; implicit-def: $vgpr4
.LBB14_1299:
	s_andn2_b32 vcc_lo, exec_lo, s0
	s_cbranch_vccnz .LBB14_1301
; %bb.1300:
	global_load_dword v4, v[1:2], off
.LBB14_1301:
	s_mov_b32 s0, 0
.LBB14_1302:
	s_andn2_b32 vcc_lo, exec_lo, s0
	s_cbranch_vccnz .LBB14_1304
; %bb.1303:
	global_load_dword v4, v[1:2], off
	s_waitcnt vmcnt(0)
	v_cvt_f32_f16_e32 v4, v4
.LBB14_1304:
	s_mov_b32 s0, 0
.LBB14_1305:
	s_andn2_b32 vcc_lo, exec_lo, s0
	s_cbranch_vccnz .LBB14_1316
; %bb.1306:
	s_cmp_lt_i32 s6, 6
	s_cbranch_scc1 .LBB14_1309
; %bb.1307:
	s_cmp_gt_i32 s6, 6
	s_cbranch_scc0 .LBB14_1310
; %bb.1308:
	global_load_dwordx2 v[4:5], v[1:2], off
	s_mov_b32 s0, 0
	s_waitcnt vmcnt(0)
	v_cvt_f32_f64_e32 v4, v[4:5]
	s_branch .LBB14_1311
.LBB14_1309:
	s_mov_b32 s0, -1
                                        ; implicit-def: $vgpr4
	s_branch .LBB14_1314
.LBB14_1310:
	s_mov_b32 s0, -1
                                        ; implicit-def: $vgpr4
.LBB14_1311:
	s_andn2_b32 vcc_lo, exec_lo, s0
	s_cbranch_vccnz .LBB14_1313
; %bb.1312:
	global_load_dword v4, v[1:2], off
.LBB14_1313:
	s_mov_b32 s0, 0
.LBB14_1314:
	s_andn2_b32 vcc_lo, exec_lo, s0
	s_cbranch_vccnz .LBB14_1316
; %bb.1315:
	global_load_ushort v4, v[1:2], off
	s_waitcnt vmcnt(0)
	v_cvt_f32_f16_e32 v4, v4
.LBB14_1316:
	s_cbranch_execnz .LBB14_1336
.LBB14_1317:
	s_cmp_lt_i32 s6, 2
	s_cbranch_scc1 .LBB14_1321
; %bb.1318:
	s_cmp_lt_i32 s6, 3
	s_cbranch_scc1 .LBB14_1322
; %bb.1319:
	s_cmp_gt_i32 s6, 3
	s_cbranch_scc0 .LBB14_1323
; %bb.1320:
	global_load_dwordx2 v[4:5], v[1:2], off
	s_mov_b32 s0, 0
	s_waitcnt vmcnt(0)
	v_xor_b32_e32 v6, v4, v5
	v_ffbh_i32_e32 v8, v5
	v_ashrrev_i32_e32 v6, 31, v6
	v_add_nc_u32_e32 v8, -1, v8
	v_add_nc_u32_e32 v6, 32, v6
	v_min_u32_e32 v6, v8, v6
	v_lshlrev_b64 v[4:5], v6, v[4:5]
	v_min_u32_e32 v4, 1, v4
	v_or_b32_e32 v4, v5, v4
	v_sub_nc_u32_e32 v5, 32, v6
	v_cvt_f32_i32_e32 v4, v4
	v_ldexp_f32 v4, v4, v5
	s_branch .LBB14_1324
.LBB14_1321:
	s_mov_b32 s0, -1
                                        ; implicit-def: $vgpr4
	s_branch .LBB14_1330
.LBB14_1322:
	s_mov_b32 s0, -1
                                        ; implicit-def: $vgpr4
	s_branch .LBB14_1327
.LBB14_1323:
	s_mov_b32 s0, -1
                                        ; implicit-def: $vgpr4
.LBB14_1324:
	s_andn2_b32 vcc_lo, exec_lo, s0
	s_cbranch_vccnz .LBB14_1326
; %bb.1325:
	global_load_dword v4, v[1:2], off
	s_waitcnt vmcnt(0)
	v_cvt_f32_i32_e32 v4, v4
.LBB14_1326:
	s_mov_b32 s0, 0
.LBB14_1327:
	s_andn2_b32 vcc_lo, exec_lo, s0
	s_cbranch_vccnz .LBB14_1329
; %bb.1328:
	global_load_sshort v4, v[1:2], off
	s_waitcnt vmcnt(0)
	v_cvt_f32_i32_e32 v4, v4
.LBB14_1329:
	s_mov_b32 s0, 0
.LBB14_1330:
	s_andn2_b32 vcc_lo, exec_lo, s0
	s_cbranch_vccnz .LBB14_1336
; %bb.1331:
	s_cmp_gt_i32 s6, 0
	s_mov_b32 s0, 0
	s_cbranch_scc0 .LBB14_1333
; %bb.1332:
	global_load_sbyte v4, v[1:2], off
	s_waitcnt vmcnt(0)
	v_cvt_f32_i32_e32 v4, v4
	s_branch .LBB14_1334
.LBB14_1333:
	s_mov_b32 s0, -1
                                        ; implicit-def: $vgpr4
.LBB14_1334:
	s_andn2_b32 vcc_lo, exec_lo, s0
	s_cbranch_vccnz .LBB14_1336
; %bb.1335:
	global_load_ubyte v1, v[1:2], off
	s_waitcnt vmcnt(0)
	v_cvt_f32_ubyte0_e32 v4, v1
.LBB14_1336:
.LBB14_1337:
	v_mov_b32_e32 v2, 0
	s_mov_b32 s13, exec_lo
	s_waitcnt vmcnt(0)
	v_cmpx_neq_f32_e64 0x7f800000, |v4|
	s_cbranch_execz .LBB14_1347
; %bb.1338:
                                        ; implicit-def: $vgpr2
	s_mov_b32 s1, exec_lo
	v_cmpx_nlt_f32_e64 |v4|, 0.5
	s_xor_b32 s14, exec_lo, s1
	s_cbranch_execz .LBB14_1344
; %bb.1339:
	v_and_b32_e32 v1, 0x7fffffff, v4
                                        ; implicit-def: $vgpr5
                                        ; implicit-def: $vgpr2
	s_mov_b32 s1, exec_lo
	v_cmpx_ngt_f32_e64 0x48000000, |v4|
	s_xor_b32 s15, exec_lo, s1
	s_cbranch_execz .LBB14_1341
; %bb.1340:
	s_mov_b32 s0, 0x7fffff
	v_mov_b32_e32 v9, 0
	v_and_or_b32 v2, v1, s0, 0x800000
	v_mad_u64_u32 v[5:6], null, 0xfe5163ab, v2, 0
	v_mov_b32_e32 v8, v6
	v_lshrrev_b32_e32 v6, 23, v1
	v_mad_u64_u32 v[10:11], null, 0x3c439041, v2, v[8:9]
	v_add_nc_u32_e32 v6, 0xffffff88, v6
	v_cmp_lt_u32_e32 vcc_lo, 63, v6
	v_mov_b32_e32 v8, v11
	v_cndmask_b32_e64 v15, 0, 0xffffffc0, vcc_lo
	v_mad_u64_u32 v[11:12], null, 0xdb629599, v2, v[8:9]
	v_add_nc_u32_e32 v6, v15, v6
	v_mov_b32_e32 v8, v12
	v_cmp_lt_u32_e64 s0, 31, v6
	v_cndmask_b32_e32 v5, v11, v5, vcc_lo
	v_mad_u64_u32 v[12:13], null, 0xf534ddc0, v2, v[8:9]
	v_cndmask_b32_e64 v16, 0, 0xffffffe0, s0
	v_add_nc_u32_e32 v6, v16, v6
	v_mov_b32_e32 v8, v13
	v_cmp_lt_u32_e64 s1, 31, v6
	v_mad_u64_u32 v[13:14], null, 0xfc2757d1, v2, v[8:9]
	v_mov_b32_e32 v8, v14
	v_mad_u64_u32 v[14:15], null, 0x4e441529, v2, v[8:9]
	v_mov_b32_e32 v8, v15
	v_cndmask_b32_e32 v15, v14, v12, vcc_lo
	v_mad_u64_u32 v[8:9], null, 0xa2f9836e, v2, v[8:9]
	v_cndmask_b32_e64 v2, 0, 0xffffffe0, s1
	v_add_nc_u32_e32 v2, v2, v6
	v_cndmask_b32_e32 v8, v8, v13, vcc_lo
	v_cndmask_b32_e32 v9, v9, v14, vcc_lo
	;; [unrolled: 1-line block ×4, first 2 shown]
	v_sub_nc_u32_e32 v12, 32, v2
	v_cndmask_b32_e64 v10, v8, v15, s0
	v_cndmask_b32_e64 v8, v9, v8, s0
	;; [unrolled: 1-line block ×4, first 2 shown]
	v_cmp_eq_u32_e32 vcc_lo, 0, v2
	v_cndmask_b32_e64 v5, v6, v5, s0
	v_cndmask_b32_e64 v8, v8, v10, s1
	;; [unrolled: 1-line block ×5, first 2 shown]
	v_alignbit_b32 v14, v8, v10, v12
	v_alignbit_b32 v11, v10, v9, v12
	;; [unrolled: 1-line block ×3, first 2 shown]
	v_cndmask_b32_e32 v2, v14, v8, vcc_lo
	v_cndmask_b32_e32 v6, v11, v10, vcc_lo
	;; [unrolled: 1-line block ×3, first 2 shown]
	v_bfe_u32 v8, v2, 29, 1
	v_alignbit_b32 v10, v2, v6, 30
	v_alignbit_b32 v6, v6, v9, 30
	;; [unrolled: 1-line block ×3, first 2 shown]
	v_sub_nc_u32_e32 v11, 0, v8
	v_xor_b32_e32 v10, v10, v11
	v_xor_b32_e32 v6, v6, v11
	;; [unrolled: 1-line block ×3, first 2 shown]
	v_lshrrev_b32_e32 v11, 29, v2
	v_ffbh_u32_e32 v12, v10
	v_min_u32_e32 v12, 32, v12
	v_sub_nc_u32_e32 v9, 31, v12
	v_lshlrev_b32_e32 v13, 23, v12
	v_alignbit_b32 v10, v10, v6, v9
	v_alignbit_b32 v5, v6, v5, v9
	v_lshlrev_b32_e32 v6, 31, v11
	v_alignbit_b32 v9, v10, v5, 9
	v_or_b32_e32 v11, 0.5, v6
	v_lshrrev_b32_e32 v10, 9, v10
	v_or_b32_e32 v6, 0x33000000, v6
	v_ffbh_u32_e32 v14, v9
	v_sub_nc_u32_e32 v11, v11, v13
	v_min_u32_e32 v13, 32, v14
	v_or_b32_e32 v10, v10, v11
	v_not_b32_e32 v11, v13
	v_mul_f32_e32 v14, 0x3fc90fda, v10
	v_add_lshl_u32 v12, v13, v12, 23
	v_alignbit_b32 v5, v9, v5, v11
	v_fma_f32 v9, 0x3fc90fda, v10, -v14
	v_sub_nc_u32_e32 v6, v6, v12
	v_lshrrev_b32_e32 v5, 9, v5
	v_fmamk_f32 v9, v10, 0x33a22168, v9
	v_or_b32_e32 v5, v6, v5
	v_fmac_f32_e32 v9, 0x3fc90fda, v5
	v_lshrrev_b32_e32 v5, 30, v2
	v_add_f32_e32 v2, v14, v9
	v_add_nc_u32_e32 v5, v8, v5
.LBB14_1341:
	s_andn2_saveexec_b32 s0, s15
; %bb.1342:
	v_mul_f32_e64 v2, 0x3f22f983, |v4|
	v_rndne_f32_e32 v5, v2
	v_fma_f32 v2, 0xbfc90fda, v5, |v4|
	v_fmamk_f32 v2, v5, 0xb3a22168, v2
	v_fmamk_f32 v2, v5, 0xa7c234c4, v2
	v_cvt_i32_f32_e32 v5, v5
; %bb.1343:
	s_or_b32 exec_lo, exec_lo, s0
	v_mul_f32_e32 v6, v2, v2
	s_mov_b32 s0, 0xb94c1982
	s_mov_b32 s1, 0x37d75334
	v_and_b32_e32 v10, 1, v5
	v_lshlrev_b32_e32 v5, 30, v5
	v_fmaak_f32 v8, s0, v6, 0x3c0881c4
	v_fmaak_f32 v9, s1, v6, 0xbab64f3b
	v_xor_b32_e32 v1, v1, v4
	v_cmp_eq_u32_e32 vcc_lo, 0, v10
	v_and_b32_e32 v5, 0x80000000, v5
	v_fmaak_f32 v8, v6, v8, 0xbe2aaa9d
	v_fmaak_f32 v9, v6, v9, 0x3d2aabf7
	v_mul_f32_e32 v8, v6, v8
	v_fmaak_f32 v9, v6, v9, 0xbf000004
	v_fmac_f32_e32 v2, v2, v8
	v_fma_f32 v6, v6, v9, 1.0
	v_cndmask_b32_e32 v2, v6, v2, vcc_lo
	v_cmp_class_f32_e64 vcc_lo, v4, 0x1f8
	v_xor3_b32 v1, v1, v5, v2
	v_cndmask_b32_e32 v1, 0x7fc00000, v1, vcc_lo
	v_div_scale_f32 v2, null, v4, v4, v1
	v_rcp_f32_e32 v5, v2
	v_fma_f32 v6, -v2, v5, 1.0
	v_fmac_f32_e32 v5, v6, v5
	v_div_scale_f32 v6, vcc_lo, v1, v4, v1
	v_mul_f32_e32 v8, v6, v5
	v_fma_f32 v9, -v2, v8, v6
	v_fmac_f32_e32 v8, v9, v5
	v_fma_f32 v2, -v2, v8, v6
	v_div_fmas_f32 v2, v2, v5, v8
	v_div_fixup_f32 v2, v2, v4, v1
                                        ; implicit-def: $vgpr4
.LBB14_1344:
	s_andn2_saveexec_b32 s0, s14
	s_cbranch_execz .LBB14_1346
; %bb.1345:
	v_mul_f32_e32 v1, v4, v4
	s_mov_b32 s1, 0x2f309231
	v_fmaak_f32 v2, s1, v1, 0xb2d7322b
	v_fmaak_f32 v2, v1, v2, 0x3638ef1d
	;; [unrolled: 1-line block ×5, first 2 shown]
	v_fma_f32 v2, v1, v2, 1.0
.LBB14_1346:
	s_or_b32 exec_lo, exec_lo, s0
.LBB14_1347:
	s_or_b32 exec_lo, exec_lo, s13
	v_add_nc_u32_e32 v1, s3, v3
	s_cmp_lt_i32 s6, 11
	v_ashrrev_i32_e32 v4, 31, v1
	v_add_co_u32 v3, vcc_lo, s10, v1
	v_add_co_ci_u32_e64 v4, null, s11, v4, vcc_lo
	s_cbranch_scc1 .LBB14_1354
; %bb.1348:
	s_cmp_gt_i32 s6, 25
	s_mov_b32 s1, 0
	s_cbranch_scc0 .LBB14_1356
; %bb.1349:
	s_cmp_gt_i32 s6, 28
	s_cbranch_scc0 .LBB14_1357
; %bb.1350:
	s_cmp_gt_i32 s6, 43
	;; [unrolled: 3-line block ×3, first 2 shown]
	s_cbranch_scc0 .LBB14_1360
; %bb.1352:
	s_cmp_eq_u32 s6, 46
	s_mov_b32 s14, 0
	s_cbranch_scc0 .LBB14_1361
; %bb.1353:
	global_load_dword v5, v[3:4], off
	s_mov_b32 s0, 0
	s_mov_b32 s13, -1
	s_waitcnt vmcnt(0)
	v_lshlrev_b32_e32 v5, 16, v5
	s_branch .LBB14_1363
.LBB14_1354:
	s_mov_b32 s13, 0
                                        ; implicit-def: $vgpr5
	s_cbranch_execnz .LBB14_1429
.LBB14_1355:
	s_andn2_b32 vcc_lo, exec_lo, s13
	s_cbranch_vccnz .LBB14_1706
	s_branch .LBB14_1477
.LBB14_1356:
	s_mov_b32 s14, -1
	s_mov_b32 s13, 0
	s_mov_b32 s0, 0
                                        ; implicit-def: $vgpr5
	s_branch .LBB14_1392
.LBB14_1357:
	s_mov_b32 s14, -1
	s_mov_b32 s13, 0
	s_mov_b32 s0, 0
                                        ; implicit-def: $vgpr5
	s_branch .LBB14_1373
.LBB14_1358:
	s_mov_b32 s14, -1
	s_mov_b32 s13, 0
	s_mov_b32 s0, 0
                                        ; implicit-def: $vgpr5
	s_branch .LBB14_1368
.LBB14_1359:
	s_or_b32 s5, s5, exec_lo
	s_trap 2
	s_cbranch_execz .LBB14_1288
	s_branch .LBB14_1289
.LBB14_1360:
	s_mov_b32 s14, -1
	s_mov_b32 s13, 0
	s_mov_b32 s0, 0
	s_branch .LBB14_1362
.LBB14_1361:
	s_mov_b32 s0, -1
	s_mov_b32 s13, 0
.LBB14_1362:
                                        ; implicit-def: $vgpr5
.LBB14_1363:
	s_and_b32 vcc_lo, exec_lo, s14
	s_cbranch_vccz .LBB14_1367
; %bb.1364:
	s_cmp_eq_u32 s6, 44
	s_cbranch_scc0 .LBB14_1366
; %bb.1365:
	global_load_ubyte v5, v[3:4], off
	s_mov_b32 s0, 0
	s_mov_b32 s13, -1
	s_waitcnt vmcnt(0)
	v_lshlrev_b32_e32 v6, 23, v5
	v_cmp_ne_u32_e32 vcc_lo, 0xff, v5
	v_cndmask_b32_e32 v6, 0x7f800001, v6, vcc_lo
	v_cmp_ne_u32_e32 vcc_lo, 0, v5
	v_cndmask_b32_e32 v5, 0x400000, v6, vcc_lo
	s_branch .LBB14_1367
.LBB14_1366:
	s_mov_b32 s0, -1
                                        ; implicit-def: $vgpr5
.LBB14_1367:
	s_mov_b32 s14, 0
.LBB14_1368:
	s_and_b32 vcc_lo, exec_lo, s14
	s_cbranch_vccz .LBB14_1372
; %bb.1369:
	s_cmp_eq_u32 s6, 29
	s_cbranch_scc0 .LBB14_1371
; %bb.1370:
	global_load_dwordx2 v[5:6], v[3:4], off
	s_mov_b32 s0, 0
	s_mov_b32 s13, -1
	s_mov_b32 s14, 0
	s_waitcnt vmcnt(0)
	v_ffbh_u32_e32 v8, v6
	v_min_u32_e32 v8, 32, v8
	v_lshlrev_b64 v[5:6], v8, v[5:6]
	v_min_u32_e32 v5, 1, v5
	v_or_b32_e32 v5, v6, v5
	v_sub_nc_u32_e32 v6, 32, v8
	v_cvt_f32_u32_e32 v5, v5
	v_ldexp_f32 v5, v5, v6
	s_branch .LBB14_1373
.LBB14_1371:
	s_mov_b32 s0, -1
                                        ; implicit-def: $vgpr5
.LBB14_1372:
	s_mov_b32 s14, 0
.LBB14_1373:
	s_and_b32 vcc_lo, exec_lo, s14
	s_cbranch_vccz .LBB14_1391
; %bb.1374:
	s_cmp_lt_i32 s6, 27
	s_cbranch_scc1 .LBB14_1377
; %bb.1375:
	s_cmp_gt_i32 s6, 27
	s_cbranch_scc0 .LBB14_1378
; %bb.1376:
	global_load_dword v5, v[3:4], off
	s_mov_b32 s13, 0
	s_waitcnt vmcnt(0)
	v_cvt_f32_u32_e32 v5, v5
	s_branch .LBB14_1379
.LBB14_1377:
	s_mov_b32 s13, -1
                                        ; implicit-def: $vgpr5
	s_branch .LBB14_1382
.LBB14_1378:
	s_mov_b32 s13, -1
                                        ; implicit-def: $vgpr5
.LBB14_1379:
	s_andn2_b32 vcc_lo, exec_lo, s13
	s_cbranch_vccnz .LBB14_1381
; %bb.1380:
	global_load_ushort v5, v[3:4], off
	s_waitcnt vmcnt(0)
	v_cvt_f32_u32_e32 v5, v5
.LBB14_1381:
	s_mov_b32 s13, 0
.LBB14_1382:
	s_andn2_b32 vcc_lo, exec_lo, s13
	s_cbranch_vccnz .LBB14_1390
; %bb.1383:
	global_load_ubyte v6, v[3:4], off
	s_mov_b32 s13, 0
	s_mov_b32 s14, exec_lo
	s_waitcnt vmcnt(0)
	v_cmpx_lt_i16_e32 0x7f, v6
	s_xor_b32 s14, exec_lo, s14
	s_cbranch_execz .LBB14_1404
; %bb.1384:
	s_mov_b32 s13, -1
	s_mov_b32 s15, exec_lo
	v_cmpx_eq_u16_e32 0x80, v6
; %bb.1385:
	s_xor_b32 s13, exec_lo, -1
; %bb.1386:
	s_or_b32 exec_lo, exec_lo, s15
	s_and_b32 s13, s13, exec_lo
	s_or_saveexec_b32 s14, s14
	v_mov_b32_e32 v5, 0x7f800001
	s_xor_b32 exec_lo, exec_lo, s14
	s_cbranch_execnz .LBB14_1405
.LBB14_1387:
	s_or_b32 exec_lo, exec_lo, s14
	s_and_saveexec_b32 s14, s13
	s_cbranch_execz .LBB14_1389
.LBB14_1388:
	v_and_b32_e32 v5, 0xffff, v6
	v_lshlrev_b32_e32 v6, 24, v6
	v_and_b32_e32 v8, 7, v5
	v_bfe_u32 v11, v5, 3, 4
	v_and_b32_e32 v6, 0x80000000, v6
	v_ffbh_u32_e32 v9, v8
	v_cmp_eq_u32_e32 vcc_lo, 0, v11
	v_min_u32_e32 v9, 32, v9
	v_subrev_nc_u32_e32 v10, 28, v9
	v_sub_nc_u32_e32 v9, 29, v9
	v_lshlrev_b32_e32 v5, v10, v5
	v_cndmask_b32_e32 v9, v11, v9, vcc_lo
	v_and_b32_e32 v5, 7, v5
	v_cndmask_b32_e32 v5, v8, v5, vcc_lo
	v_lshl_add_u32 v8, v9, 23, 0x3b800000
	v_lshlrev_b32_e32 v5, 20, v5
	v_or3_b32 v5, v6, v8, v5
.LBB14_1389:
	s_or_b32 exec_lo, exec_lo, s14
.LBB14_1390:
	s_mov_b32 s13, -1
.LBB14_1391:
	s_mov_b32 s14, 0
.LBB14_1392:
	s_and_b32 vcc_lo, exec_lo, s14
	s_cbranch_vccz .LBB14_1425
; %bb.1393:
	s_cmp_gt_i32 s6, 22
	s_cbranch_scc0 .LBB14_1403
; %bb.1394:
	s_cmp_lt_i32 s6, 24
	s_cbranch_scc1 .LBB14_1406
; %bb.1395:
	s_cmp_gt_i32 s6, 24
	s_cbranch_scc0 .LBB14_1407
; %bb.1396:
	global_load_ubyte v6, v[3:4], off
	s_mov_b32 s13, exec_lo
	s_waitcnt vmcnt(0)
	v_cmpx_lt_i16_e32 0x7f, v6
	s_xor_b32 s13, exec_lo, s13
	s_cbranch_execz .LBB14_1419
; %bb.1397:
	s_mov_b32 s1, -1
	s_mov_b32 s14, exec_lo
	v_cmpx_eq_u16_e32 0x80, v6
; %bb.1398:
	s_xor_b32 s1, exec_lo, -1
; %bb.1399:
	s_or_b32 exec_lo, exec_lo, s14
	s_and_b32 s1, s1, exec_lo
	s_or_saveexec_b32 s13, s13
	v_mov_b32_e32 v5, 0x7f800001
	s_xor_b32 exec_lo, exec_lo, s13
	s_cbranch_execnz .LBB14_1420
.LBB14_1400:
	s_or_b32 exec_lo, exec_lo, s13
	s_and_saveexec_b32 s13, s1
	s_cbranch_execz .LBB14_1402
.LBB14_1401:
	v_and_b32_e32 v5, 0xffff, v6
	v_lshlrev_b32_e32 v6, 24, v6
	v_and_b32_e32 v8, 3, v5
	v_bfe_u32 v11, v5, 2, 5
	v_and_b32_e32 v6, 0x80000000, v6
	v_ffbh_u32_e32 v9, v8
	v_cmp_eq_u32_e32 vcc_lo, 0, v11
	v_min_u32_e32 v9, 32, v9
	v_subrev_nc_u32_e32 v10, 29, v9
	v_sub_nc_u32_e32 v9, 30, v9
	v_lshlrev_b32_e32 v5, v10, v5
	v_cndmask_b32_e32 v9, v11, v9, vcc_lo
	v_and_b32_e32 v5, 3, v5
	v_cndmask_b32_e32 v5, v8, v5, vcc_lo
	v_lshl_add_u32 v8, v9, 23, 0x37800000
	v_lshlrev_b32_e32 v5, 21, v5
	v_or3_b32 v5, v6, v8, v5
.LBB14_1402:
	s_or_b32 exec_lo, exec_lo, s13
	s_mov_b32 s1, 0
	s_branch .LBB14_1408
.LBB14_1403:
	s_mov_b32 s1, -1
                                        ; implicit-def: $vgpr5
	s_branch .LBB14_1414
.LBB14_1404:
	s_or_saveexec_b32 s14, s14
	v_mov_b32_e32 v5, 0x7f800001
	s_xor_b32 exec_lo, exec_lo, s14
	s_cbranch_execz .LBB14_1387
.LBB14_1405:
	v_cmp_ne_u16_e32 vcc_lo, 0, v6
	v_mov_b32_e32 v5, 0
	s_andn2_b32 s13, s13, exec_lo
	s_and_b32 s15, vcc_lo, exec_lo
	s_or_b32 s13, s13, s15
	s_or_b32 exec_lo, exec_lo, s14
	s_and_saveexec_b32 s14, s13
	s_cbranch_execnz .LBB14_1388
	s_branch .LBB14_1389
.LBB14_1406:
	s_mov_b32 s1, -1
                                        ; implicit-def: $vgpr5
	s_branch .LBB14_1411
.LBB14_1407:
	s_mov_b32 s1, -1
                                        ; implicit-def: $vgpr5
.LBB14_1408:
	s_and_b32 vcc_lo, exec_lo, s1
	s_cbranch_vccz .LBB14_1410
; %bb.1409:
	global_load_ubyte v5, v[3:4], off
	s_waitcnt vmcnt(0)
	v_lshlrev_b32_e32 v5, 24, v5
	v_and_b32_e32 v6, 0x7f000000, v5
	v_ffbh_u32_e32 v8, v6
	v_add_nc_u32_e32 v10, 0x1000000, v6
	v_cmp_ne_u32_e32 vcc_lo, 0, v6
	v_min_u32_e32 v8, 32, v8
	v_sub_nc_u32_e64 v8, v8, 4 clamp
	v_lshlrev_b32_e32 v9, v8, v6
	v_lshlrev_b32_e32 v8, 23, v8
	v_lshrrev_b32_e32 v9, 4, v9
	v_sub_nc_u32_e32 v8, v9, v8
	v_ashrrev_i32_e32 v9, 8, v10
	v_add_nc_u32_e32 v8, 0x3c000000, v8
	v_and_or_b32 v8, 0x7f800000, v9, v8
	v_cndmask_b32_e32 v6, 0, v8, vcc_lo
	v_and_or_b32 v5, 0x80000000, v5, v6
.LBB14_1410:
	s_mov_b32 s1, 0
.LBB14_1411:
	s_andn2_b32 vcc_lo, exec_lo, s1
	s_cbranch_vccnz .LBB14_1413
; %bb.1412:
	global_load_ubyte v5, v[3:4], off
	s_waitcnt vmcnt(0)
	v_lshlrev_b32_e32 v6, 25, v5
	v_lshlrev_b16 v5, 8, v5
	v_lshrrev_b32_e32 v8, 4, v6
	v_and_or_b32 v9, 0x7f00, v5, 0.5
	v_cmp_gt_u32_e32 vcc_lo, 0x8000000, v6
	v_bfe_i32 v5, v5, 0, 16
	v_or_b32_e32 v8, 0x70000000, v8
	v_add_f32_e32 v9, -0.5, v9
	v_mul_f32_e32 v8, 0x7800000, v8
	v_cndmask_b32_e32 v6, v8, v9, vcc_lo
	v_and_or_b32 v5, 0x80000000, v5, v6
.LBB14_1413:
	s_mov_b32 s1, 0
	s_mov_b32 s13, -1
.LBB14_1414:
	s_andn2_b32 vcc_lo, exec_lo, s1
	s_mov_b32 s1, 0
	s_cbranch_vccnz .LBB14_1425
; %bb.1415:
	s_cmp_gt_i32 s6, 14
	s_cbranch_scc0 .LBB14_1418
; %bb.1416:
	s_cmp_eq_u32 s6, 15
	s_cbranch_scc0 .LBB14_1421
; %bb.1417:
	global_load_ushort v5, v[3:4], off
	s_mov_b32 s0, 0
	s_mov_b32 s13, -1
	s_waitcnt vmcnt(0)
	v_lshlrev_b32_e32 v5, 16, v5
	s_branch .LBB14_1423
.LBB14_1418:
	s_mov_b32 s1, -1
	s_branch .LBB14_1422
.LBB14_1419:
	s_or_saveexec_b32 s13, s13
	v_mov_b32_e32 v5, 0x7f800001
	s_xor_b32 exec_lo, exec_lo, s13
	s_cbranch_execz .LBB14_1400
.LBB14_1420:
	v_cmp_ne_u16_e32 vcc_lo, 0, v6
	v_mov_b32_e32 v5, 0
	s_andn2_b32 s1, s1, exec_lo
	s_and_b32 s14, vcc_lo, exec_lo
	s_or_b32 s1, s1, s14
	s_or_b32 exec_lo, exec_lo, s13
	s_and_saveexec_b32 s13, s1
	s_cbranch_execnz .LBB14_1401
	s_branch .LBB14_1402
.LBB14_1421:
	s_mov_b32 s0, -1
.LBB14_1422:
                                        ; implicit-def: $vgpr5
.LBB14_1423:
	s_and_b32 vcc_lo, exec_lo, s1
	s_mov_b32 s1, 0
	s_cbranch_vccz .LBB14_1425
; %bb.1424:
	s_cmp_lg_u32 s6, 11
	s_mov_b32 s1, -1
	s_cselect_b32 s0, -1, 0
.LBB14_1425:
	s_and_b32 vcc_lo, exec_lo, s0
	s_cbranch_vccnz .LBB14_1498
; %bb.1426:
	s_andn2_b32 vcc_lo, exec_lo, s1
	s_cbranch_vccnz .LBB14_1428
.LBB14_1427:
	global_load_ubyte v5, v[3:4], off
	s_mov_b32 s13, -1
	s_waitcnt vmcnt(0)
	v_cmp_ne_u16_e32 vcc_lo, 0, v5
	v_cndmask_b32_e64 v5, 0, 1.0, vcc_lo
.LBB14_1428:
	s_branch .LBB14_1355
.LBB14_1429:
	s_cmp_lt_i32 s6, 5
	s_cbranch_scc1 .LBB14_1434
; %bb.1430:
	s_cmp_lt_i32 s6, 8
	s_cbranch_scc1 .LBB14_1435
; %bb.1431:
	;; [unrolled: 3-line block ×3, first 2 shown]
	s_cmp_gt_i32 s6, 9
	s_cbranch_scc0 .LBB14_1437
; %bb.1433:
	global_load_dwordx2 v[5:6], v[3:4], off
	s_mov_b32 s0, 0
	s_waitcnt vmcnt(0)
	v_cvt_f32_f64_e32 v5, v[5:6]
	s_branch .LBB14_1438
.LBB14_1434:
	s_mov_b32 s0, -1
                                        ; implicit-def: $vgpr5
	s_branch .LBB14_1456
.LBB14_1435:
	s_mov_b32 s0, -1
                                        ; implicit-def: $vgpr5
	s_branch .LBB14_1444
.LBB14_1436:
	s_mov_b32 s0, -1
                                        ; implicit-def: $vgpr5
	s_branch .LBB14_1441
.LBB14_1437:
	s_mov_b32 s0, -1
                                        ; implicit-def: $vgpr5
.LBB14_1438:
	s_andn2_b32 vcc_lo, exec_lo, s0
	s_cbranch_vccnz .LBB14_1440
; %bb.1439:
	global_load_dword v5, v[3:4], off
.LBB14_1440:
	s_mov_b32 s0, 0
.LBB14_1441:
	s_andn2_b32 vcc_lo, exec_lo, s0
	s_cbranch_vccnz .LBB14_1443
; %bb.1442:
	global_load_dword v5, v[3:4], off
	s_waitcnt vmcnt(0)
	v_cvt_f32_f16_e32 v5, v5
.LBB14_1443:
	s_mov_b32 s0, 0
.LBB14_1444:
	s_andn2_b32 vcc_lo, exec_lo, s0
	s_cbranch_vccnz .LBB14_1455
; %bb.1445:
	s_cmp_lt_i32 s6, 6
	s_cbranch_scc1 .LBB14_1448
; %bb.1446:
	s_cmp_gt_i32 s6, 6
	s_cbranch_scc0 .LBB14_1449
; %bb.1447:
	global_load_dwordx2 v[5:6], v[3:4], off
	s_mov_b32 s0, 0
	s_waitcnt vmcnt(0)
	v_cvt_f32_f64_e32 v5, v[5:6]
	s_branch .LBB14_1450
.LBB14_1448:
	s_mov_b32 s0, -1
                                        ; implicit-def: $vgpr5
	s_branch .LBB14_1453
.LBB14_1449:
	s_mov_b32 s0, -1
                                        ; implicit-def: $vgpr5
.LBB14_1450:
	s_andn2_b32 vcc_lo, exec_lo, s0
	s_cbranch_vccnz .LBB14_1452
; %bb.1451:
	global_load_dword v5, v[3:4], off
.LBB14_1452:
	s_mov_b32 s0, 0
.LBB14_1453:
	s_andn2_b32 vcc_lo, exec_lo, s0
	s_cbranch_vccnz .LBB14_1455
; %bb.1454:
	global_load_ushort v5, v[3:4], off
	s_waitcnt vmcnt(0)
	v_cvt_f32_f16_e32 v5, v5
.LBB14_1455:
	s_mov_b32 s0, 0
.LBB14_1456:
	s_andn2_b32 vcc_lo, exec_lo, s0
	s_cbranch_vccnz .LBB14_1476
; %bb.1457:
	s_cmp_lt_i32 s6, 2
	s_cbranch_scc1 .LBB14_1461
; %bb.1458:
	s_cmp_lt_i32 s6, 3
	s_cbranch_scc1 .LBB14_1462
; %bb.1459:
	s_cmp_gt_i32 s6, 3
	s_cbranch_scc0 .LBB14_1463
; %bb.1460:
	global_load_dwordx2 v[5:6], v[3:4], off
	s_mov_b32 s0, 0
	s_waitcnt vmcnt(0)
	v_xor_b32_e32 v8, v5, v6
	v_ffbh_i32_e32 v9, v6
	v_ashrrev_i32_e32 v8, 31, v8
	v_add_nc_u32_e32 v9, -1, v9
	v_add_nc_u32_e32 v8, 32, v8
	v_min_u32_e32 v8, v9, v8
	v_lshlrev_b64 v[5:6], v8, v[5:6]
	v_min_u32_e32 v5, 1, v5
	v_or_b32_e32 v5, v6, v5
	v_sub_nc_u32_e32 v6, 32, v8
	v_cvt_f32_i32_e32 v5, v5
	v_ldexp_f32 v5, v5, v6
	s_branch .LBB14_1464
.LBB14_1461:
	s_mov_b32 s0, -1
                                        ; implicit-def: $vgpr5
	s_branch .LBB14_1470
.LBB14_1462:
	s_mov_b32 s0, -1
                                        ; implicit-def: $vgpr5
	s_branch .LBB14_1467
.LBB14_1463:
	s_mov_b32 s0, -1
                                        ; implicit-def: $vgpr5
.LBB14_1464:
	s_andn2_b32 vcc_lo, exec_lo, s0
	s_cbranch_vccnz .LBB14_1466
; %bb.1465:
	global_load_dword v5, v[3:4], off
	s_waitcnt vmcnt(0)
	v_cvt_f32_i32_e32 v5, v5
.LBB14_1466:
	s_mov_b32 s0, 0
.LBB14_1467:
	s_andn2_b32 vcc_lo, exec_lo, s0
	s_cbranch_vccnz .LBB14_1469
; %bb.1468:
	global_load_sshort v5, v[3:4], off
	s_waitcnt vmcnt(0)
	v_cvt_f32_i32_e32 v5, v5
.LBB14_1469:
	s_mov_b32 s0, 0
.LBB14_1470:
	s_andn2_b32 vcc_lo, exec_lo, s0
	s_cbranch_vccnz .LBB14_1476
; %bb.1471:
	s_cmp_gt_i32 s6, 0
	s_mov_b32 s0, 0
	s_cbranch_scc0 .LBB14_1473
; %bb.1472:
	global_load_sbyte v5, v[3:4], off
	s_waitcnt vmcnt(0)
	v_cvt_f32_i32_e32 v5, v5
	s_branch .LBB14_1474
.LBB14_1473:
	s_mov_b32 s0, -1
                                        ; implicit-def: $vgpr5
.LBB14_1474:
	s_andn2_b32 vcc_lo, exec_lo, s0
	s_cbranch_vccnz .LBB14_1476
; %bb.1475:
	global_load_ubyte v3, v[3:4], off
	s_waitcnt vmcnt(0)
	v_cvt_f32_ubyte0_e32 v5, v3
.LBB14_1476:
.LBB14_1477:
	v_mov_b32_e32 v4, 0
	s_mov_b32 s13, exec_lo
	s_waitcnt vmcnt(0)
	v_cmpx_neq_f32_e64 0x7f800000, |v5|
	s_cbranch_execz .LBB14_1487
; %bb.1478:
                                        ; implicit-def: $vgpr4
	s_mov_b32 s1, exec_lo
	v_cmpx_nlt_f32_e64 |v5|, 0.5
	s_xor_b32 s14, exec_lo, s1
	s_cbranch_execz .LBB14_1484
; %bb.1479:
	v_and_b32_e32 v3, 0x7fffffff, v5
                                        ; implicit-def: $vgpr6
                                        ; implicit-def: $vgpr4
	s_mov_b32 s1, exec_lo
	v_cmpx_ngt_f32_e64 0x48000000, |v5|
	s_xor_b32 s15, exec_lo, s1
	s_cbranch_execz .LBB14_1481
; %bb.1480:
	s_mov_b32 s0, 0x7fffff
	v_mov_b32_e32 v10, 0
	v_and_or_b32 v4, v3, s0, 0x800000
	v_lshrrev_b32_e32 v6, 23, v3
	v_mad_u64_u32 v[8:9], null, 0xfe5163ab, v4, 0
	v_add_nc_u32_e32 v6, 0xffffff88, v6
	v_cmp_lt_u32_e32 vcc_lo, 63, v6
	v_mad_u64_u32 v[11:12], null, 0x3c439041, v4, v[9:10]
	v_cndmask_b32_e64 v16, 0, 0xffffffc0, vcc_lo
	v_mov_b32_e32 v9, v12
	v_add_nc_u32_e32 v6, v16, v6
	v_mad_u64_u32 v[12:13], null, 0xdb629599, v4, v[9:10]
	v_cmp_lt_u32_e64 s0, 31, v6
	v_cndmask_b32_e64 v17, 0, 0xffffffe0, s0
	v_mov_b32_e32 v9, v13
	v_cndmask_b32_e32 v8, v12, v8, vcc_lo
	v_add_nc_u32_e32 v6, v17, v6
	v_mad_u64_u32 v[13:14], null, 0xf534ddc0, v4, v[9:10]
	v_cmp_lt_u32_e64 s1, 31, v6
	v_mov_b32_e32 v9, v14
	v_mad_u64_u32 v[14:15], null, 0xfc2757d1, v4, v[9:10]
	v_mov_b32_e32 v9, v15
	v_mad_u64_u32 v[15:16], null, 0x4e441529, v4, v[9:10]
	v_mov_b32_e32 v9, v16
	v_cndmask_b32_e32 v16, v15, v13, vcc_lo
	v_mad_u64_u32 v[9:10], null, 0xa2f9836e, v4, v[9:10]
	v_cndmask_b32_e64 v4, 0, 0xffffffe0, s1
	v_add_nc_u32_e32 v4, v4, v6
	v_cndmask_b32_e32 v9, v9, v14, vcc_lo
	v_cndmask_b32_e32 v10, v10, v15, vcc_lo
	;; [unrolled: 1-line block ×4, first 2 shown]
	v_sub_nc_u32_e32 v13, 32, v4
	v_cndmask_b32_e64 v11, v9, v16, s0
	v_cndmask_b32_e64 v9, v10, v9, s0
	;; [unrolled: 1-line block ×4, first 2 shown]
	v_cmp_eq_u32_e32 vcc_lo, 0, v4
	v_cndmask_b32_e64 v6, v6, v8, s0
	v_cndmask_b32_e64 v9, v9, v11, s1
	;; [unrolled: 1-line block ×5, first 2 shown]
	v_alignbit_b32 v15, v9, v11, v13
	v_alignbit_b32 v12, v11, v10, v13
	v_alignbit_b32 v13, v10, v6, v13
	v_cndmask_b32_e32 v4, v15, v9, vcc_lo
	v_cndmask_b32_e32 v8, v12, v11, vcc_lo
	;; [unrolled: 1-line block ×3, first 2 shown]
	v_bfe_u32 v9, v4, 29, 1
	v_alignbit_b32 v11, v4, v8, 30
	v_alignbit_b32 v8, v8, v10, 30
	;; [unrolled: 1-line block ×3, first 2 shown]
	v_sub_nc_u32_e32 v12, 0, v9
	v_xor_b32_e32 v11, v11, v12
	v_xor_b32_e32 v8, v8, v12
	;; [unrolled: 1-line block ×3, first 2 shown]
	v_lshrrev_b32_e32 v12, 29, v4
	v_ffbh_u32_e32 v13, v11
	v_min_u32_e32 v13, 32, v13
	v_sub_nc_u32_e32 v10, 31, v13
	v_lshlrev_b32_e32 v14, 23, v13
	v_alignbit_b32 v11, v11, v8, v10
	v_alignbit_b32 v6, v8, v6, v10
	v_lshlrev_b32_e32 v8, 31, v12
	v_alignbit_b32 v10, v11, v6, 9
	v_or_b32_e32 v12, 0.5, v8
	v_lshrrev_b32_e32 v11, 9, v11
	v_or_b32_e32 v8, 0x33000000, v8
	v_ffbh_u32_e32 v15, v10
	v_sub_nc_u32_e32 v12, v12, v14
	v_min_u32_e32 v14, 32, v15
	v_or_b32_e32 v11, v11, v12
	v_not_b32_e32 v12, v14
	v_mul_f32_e32 v15, 0x3fc90fda, v11
	v_add_lshl_u32 v13, v14, v13, 23
	v_alignbit_b32 v6, v10, v6, v12
	v_fma_f32 v10, 0x3fc90fda, v11, -v15
	v_sub_nc_u32_e32 v8, v8, v13
	v_lshrrev_b32_e32 v6, 9, v6
	v_fmamk_f32 v10, v11, 0x33a22168, v10
	v_or_b32_e32 v6, v8, v6
	v_fmac_f32_e32 v10, 0x3fc90fda, v6
	v_lshrrev_b32_e32 v6, 30, v4
	v_add_f32_e32 v4, v15, v10
	v_add_nc_u32_e32 v6, v9, v6
.LBB14_1481:
	s_andn2_saveexec_b32 s0, s15
; %bb.1482:
	v_mul_f32_e64 v4, 0x3f22f983, |v5|
	v_rndne_f32_e32 v6, v4
	v_fma_f32 v4, 0xbfc90fda, v6, |v5|
	v_fmamk_f32 v4, v6, 0xb3a22168, v4
	v_fmamk_f32 v4, v6, 0xa7c234c4, v4
	v_cvt_i32_f32_e32 v6, v6
; %bb.1483:
	s_or_b32 exec_lo, exec_lo, s0
	v_mul_f32_e32 v8, v4, v4
	s_mov_b32 s0, 0xb94c1982
	s_mov_b32 s1, 0x37d75334
	v_and_b32_e32 v11, 1, v6
	v_lshlrev_b32_e32 v6, 30, v6
	v_fmaak_f32 v9, s0, v8, 0x3c0881c4
	v_fmaak_f32 v10, s1, v8, 0xbab64f3b
	v_xor_b32_e32 v3, v3, v5
	v_cmp_eq_u32_e32 vcc_lo, 0, v11
	v_and_b32_e32 v6, 0x80000000, v6
	v_fmaak_f32 v9, v8, v9, 0xbe2aaa9d
	v_fmaak_f32 v10, v8, v10, 0x3d2aabf7
	v_mul_f32_e32 v9, v8, v9
	v_fmaak_f32 v10, v8, v10, 0xbf000004
	v_fmac_f32_e32 v4, v4, v9
	v_fma_f32 v8, v8, v10, 1.0
	v_cndmask_b32_e32 v4, v8, v4, vcc_lo
	v_cmp_class_f32_e64 vcc_lo, v5, 0x1f8
	v_xor3_b32 v3, v3, v6, v4
	v_cndmask_b32_e32 v3, 0x7fc00000, v3, vcc_lo
	v_div_scale_f32 v4, null, v5, v5, v3
	v_rcp_f32_e32 v6, v4
	v_fma_f32 v8, -v4, v6, 1.0
	v_fmac_f32_e32 v6, v8, v6
	v_div_scale_f32 v8, vcc_lo, v3, v5, v3
	v_mul_f32_e32 v9, v8, v6
	v_fma_f32 v10, -v4, v9, v8
	v_fmac_f32_e32 v9, v10, v6
	v_fma_f32 v4, -v4, v9, v8
	v_div_fmas_f32 v4, v4, v6, v9
	v_div_fixup_f32 v4, v4, v5, v3
                                        ; implicit-def: $vgpr5
.LBB14_1484:
	s_andn2_saveexec_b32 s0, s14
	s_cbranch_execz .LBB14_1486
; %bb.1485:
	v_mul_f32_e32 v3, v5, v5
	s_mov_b32 s1, 0x2f309231
	v_fmaak_f32 v4, s1, v3, 0xb2d7322b
	v_fmaak_f32 v4, v3, v4, 0x3638ef1d
	;; [unrolled: 1-line block ×5, first 2 shown]
	v_fma_f32 v4, v3, v4, 1.0
.LBB14_1486:
	s_or_b32 exec_lo, exec_lo, s0
.LBB14_1487:
	s_or_b32 exec_lo, exec_lo, s13
	v_add_nc_u32_e32 v1, s3, v1
	s_cmp_lt_i32 s6, 11
	v_ashrrev_i32_e32 v3, 31, v1
	v_add_co_u32 v5, vcc_lo, s10, v1
	v_add_co_ci_u32_e64 v6, null, s11, v3, vcc_lo
	s_cbranch_scc1 .LBB14_1494
; %bb.1488:
	s_cmp_gt_i32 s6, 25
	s_mov_b32 s1, 0
	s_cbranch_scc0 .LBB14_1495
; %bb.1489:
	s_cmp_gt_i32 s6, 28
	s_cbranch_scc0 .LBB14_1496
; %bb.1490:
	s_cmp_gt_i32 s6, 43
	;; [unrolled: 3-line block ×3, first 2 shown]
	s_cbranch_scc0 .LBB14_1499
; %bb.1492:
	s_cmp_eq_u32 s6, 46
	s_mov_b32 s10, 0
	s_cbranch_scc0 .LBB14_1500
; %bb.1493:
	global_load_dword v1, v[5:6], off
	s_mov_b32 s0, 0
	s_mov_b32 s3, -1
	s_waitcnt vmcnt(0)
	v_lshlrev_b32_e32 v1, 16, v1
	s_branch .LBB14_1502
.LBB14_1494:
	s_mov_b32 s0, -1
	s_mov_b32 s3, 0
                                        ; implicit-def: $vgpr1
	s_branch .LBB14_1568
.LBB14_1495:
	s_mov_b32 s10, -1
	s_mov_b32 s3, 0
	s_mov_b32 s0, 0
                                        ; implicit-def: $vgpr1
	s_branch .LBB14_1531
.LBB14_1496:
	s_mov_b32 s10, -1
	s_mov_b32 s3, 0
	s_mov_b32 s0, 0
                                        ; implicit-def: $vgpr1
	s_branch .LBB14_1512
.LBB14_1497:
	s_mov_b32 s10, -1
	s_mov_b32 s3, 0
	s_mov_b32 s0, 0
                                        ; implicit-def: $vgpr1
	s_branch .LBB14_1507
.LBB14_1498:
	s_or_b32 s5, s5, exec_lo
	s_trap 2
	s_cbranch_execz .LBB14_1427
	s_branch .LBB14_1428
.LBB14_1499:
	s_mov_b32 s10, -1
	s_mov_b32 s3, 0
	s_mov_b32 s0, 0
	s_branch .LBB14_1501
.LBB14_1500:
	s_mov_b32 s0, -1
	s_mov_b32 s3, 0
.LBB14_1501:
                                        ; implicit-def: $vgpr1
.LBB14_1502:
	s_and_b32 vcc_lo, exec_lo, s10
	s_cbranch_vccz .LBB14_1506
; %bb.1503:
	s_cmp_eq_u32 s6, 44
	s_cbranch_scc0 .LBB14_1505
; %bb.1504:
	global_load_ubyte v1, v[5:6], off
	s_mov_b32 s0, 0
	s_mov_b32 s3, -1
	s_waitcnt vmcnt(0)
	v_lshlrev_b32_e32 v3, 23, v1
	v_cmp_ne_u32_e32 vcc_lo, 0xff, v1
	v_cndmask_b32_e32 v3, 0x7f800001, v3, vcc_lo
	v_cmp_ne_u32_e32 vcc_lo, 0, v1
	v_cndmask_b32_e32 v1, 0x400000, v3, vcc_lo
	s_branch .LBB14_1506
.LBB14_1505:
	s_mov_b32 s0, -1
                                        ; implicit-def: $vgpr1
.LBB14_1506:
	s_mov_b32 s10, 0
.LBB14_1507:
	s_and_b32 vcc_lo, exec_lo, s10
	s_cbranch_vccz .LBB14_1511
; %bb.1508:
	s_cmp_eq_u32 s6, 29
	s_cbranch_scc0 .LBB14_1510
; %bb.1509:
	global_load_dwordx2 v[8:9], v[5:6], off
	s_mov_b32 s0, 0
	s_mov_b32 s3, -1
	s_mov_b32 s10, 0
	s_waitcnt vmcnt(0)
	v_ffbh_u32_e32 v1, v9
	v_min_u32_e32 v1, 32, v1
	v_lshlrev_b64 v[8:9], v1, v[8:9]
	v_sub_nc_u32_e32 v1, 32, v1
	v_min_u32_e32 v3, 1, v8
	v_or_b32_e32 v3, v9, v3
	v_cvt_f32_u32_e32 v3, v3
	v_ldexp_f32 v1, v3, v1
	s_branch .LBB14_1512
.LBB14_1510:
	s_mov_b32 s0, -1
                                        ; implicit-def: $vgpr1
.LBB14_1511:
	s_mov_b32 s10, 0
.LBB14_1512:
	s_and_b32 vcc_lo, exec_lo, s10
	s_cbranch_vccz .LBB14_1530
; %bb.1513:
	s_cmp_lt_i32 s6, 27
	s_cbranch_scc1 .LBB14_1516
; %bb.1514:
	s_cmp_gt_i32 s6, 27
	s_cbranch_scc0 .LBB14_1517
; %bb.1515:
	global_load_dword v1, v[5:6], off
	s_mov_b32 s3, 0
	s_waitcnt vmcnt(0)
	v_cvt_f32_u32_e32 v1, v1
	s_branch .LBB14_1518
.LBB14_1516:
	s_mov_b32 s3, -1
                                        ; implicit-def: $vgpr1
	s_branch .LBB14_1521
.LBB14_1517:
	s_mov_b32 s3, -1
                                        ; implicit-def: $vgpr1
.LBB14_1518:
	s_andn2_b32 vcc_lo, exec_lo, s3
	s_cbranch_vccnz .LBB14_1520
; %bb.1519:
	global_load_ushort v1, v[5:6], off
	s_waitcnt vmcnt(0)
	v_cvt_f32_u32_e32 v1, v1
.LBB14_1520:
	s_mov_b32 s3, 0
.LBB14_1521:
	s_andn2_b32 vcc_lo, exec_lo, s3
	s_cbranch_vccnz .LBB14_1529
; %bb.1522:
	global_load_ubyte v3, v[5:6], off
	s_mov_b32 s3, 0
	s_mov_b32 s10, exec_lo
	s_waitcnt vmcnt(0)
	v_cmpx_lt_i16_e32 0x7f, v3
	s_xor_b32 s10, exec_lo, s10
	s_cbranch_execz .LBB14_1543
; %bb.1523:
	s_mov_b32 s3, -1
	s_mov_b32 s11, exec_lo
	v_cmpx_eq_u16_e32 0x80, v3
; %bb.1524:
	s_xor_b32 s3, exec_lo, -1
; %bb.1525:
	s_or_b32 exec_lo, exec_lo, s11
	s_and_b32 s3, s3, exec_lo
	s_or_saveexec_b32 s10, s10
	v_mov_b32_e32 v1, 0x7f800001
	s_xor_b32 exec_lo, exec_lo, s10
	s_cbranch_execnz .LBB14_1544
.LBB14_1526:
	s_or_b32 exec_lo, exec_lo, s10
	s_and_saveexec_b32 s10, s3
	s_cbranch_execz .LBB14_1528
.LBB14_1527:
	v_and_b32_e32 v1, 0xffff, v3
	v_lshlrev_b32_e32 v3, 24, v3
	v_and_b32_e32 v8, 7, v1
	v_bfe_u32 v11, v1, 3, 4
	v_and_b32_e32 v3, 0x80000000, v3
	v_ffbh_u32_e32 v9, v8
	v_cmp_eq_u32_e32 vcc_lo, 0, v11
	v_min_u32_e32 v9, 32, v9
	v_subrev_nc_u32_e32 v10, 28, v9
	v_sub_nc_u32_e32 v9, 29, v9
	v_lshlrev_b32_e32 v1, v10, v1
	v_cndmask_b32_e32 v9, v11, v9, vcc_lo
	v_and_b32_e32 v1, 7, v1
	v_cndmask_b32_e32 v1, v8, v1, vcc_lo
	v_lshl_add_u32 v8, v9, 23, 0x3b800000
	v_lshlrev_b32_e32 v1, 20, v1
	v_or3_b32 v1, v3, v8, v1
.LBB14_1528:
	s_or_b32 exec_lo, exec_lo, s10
.LBB14_1529:
	s_mov_b32 s3, -1
.LBB14_1530:
	s_mov_b32 s10, 0
.LBB14_1531:
	s_and_b32 vcc_lo, exec_lo, s10
	s_cbranch_vccz .LBB14_1564
; %bb.1532:
	s_cmp_gt_i32 s6, 22
	s_cbranch_scc0 .LBB14_1542
; %bb.1533:
	s_cmp_lt_i32 s6, 24
	s_cbranch_scc1 .LBB14_1545
; %bb.1534:
	s_cmp_gt_i32 s6, 24
	s_cbranch_scc0 .LBB14_1546
; %bb.1535:
	global_load_ubyte v3, v[5:6], off
	s_mov_b32 s3, exec_lo
	s_waitcnt vmcnt(0)
	v_cmpx_lt_i16_e32 0x7f, v3
	s_xor_b32 s3, exec_lo, s3
	s_cbranch_execz .LBB14_1558
; %bb.1536:
	s_mov_b32 s1, -1
	s_mov_b32 s10, exec_lo
	v_cmpx_eq_u16_e32 0x80, v3
; %bb.1537:
	s_xor_b32 s1, exec_lo, -1
; %bb.1538:
	s_or_b32 exec_lo, exec_lo, s10
	s_and_b32 s1, s1, exec_lo
	s_or_saveexec_b32 s3, s3
	v_mov_b32_e32 v1, 0x7f800001
	s_xor_b32 exec_lo, exec_lo, s3
	s_cbranch_execnz .LBB14_1559
.LBB14_1539:
	s_or_b32 exec_lo, exec_lo, s3
	s_and_saveexec_b32 s3, s1
	s_cbranch_execz .LBB14_1541
.LBB14_1540:
	v_and_b32_e32 v1, 0xffff, v3
	v_lshlrev_b32_e32 v3, 24, v3
	v_and_b32_e32 v8, 3, v1
	v_bfe_u32 v11, v1, 2, 5
	v_and_b32_e32 v3, 0x80000000, v3
	v_ffbh_u32_e32 v9, v8
	v_cmp_eq_u32_e32 vcc_lo, 0, v11
	v_min_u32_e32 v9, 32, v9
	v_subrev_nc_u32_e32 v10, 29, v9
	v_sub_nc_u32_e32 v9, 30, v9
	v_lshlrev_b32_e32 v1, v10, v1
	v_cndmask_b32_e32 v9, v11, v9, vcc_lo
	v_and_b32_e32 v1, 3, v1
	v_cndmask_b32_e32 v1, v8, v1, vcc_lo
	v_lshl_add_u32 v8, v9, 23, 0x37800000
	v_lshlrev_b32_e32 v1, 21, v1
	v_or3_b32 v1, v3, v8, v1
.LBB14_1541:
	s_or_b32 exec_lo, exec_lo, s3
	s_mov_b32 s1, 0
	s_branch .LBB14_1547
.LBB14_1542:
	s_mov_b32 s1, -1
                                        ; implicit-def: $vgpr1
	s_branch .LBB14_1553
.LBB14_1543:
	s_or_saveexec_b32 s10, s10
	v_mov_b32_e32 v1, 0x7f800001
	s_xor_b32 exec_lo, exec_lo, s10
	s_cbranch_execz .LBB14_1526
.LBB14_1544:
	v_cmp_ne_u16_e32 vcc_lo, 0, v3
	v_mov_b32_e32 v1, 0
	s_andn2_b32 s3, s3, exec_lo
	s_and_b32 s11, vcc_lo, exec_lo
	s_or_b32 s3, s3, s11
	s_or_b32 exec_lo, exec_lo, s10
	s_and_saveexec_b32 s10, s3
	s_cbranch_execnz .LBB14_1527
	s_branch .LBB14_1528
.LBB14_1545:
	s_mov_b32 s1, -1
                                        ; implicit-def: $vgpr1
	s_branch .LBB14_1550
.LBB14_1546:
	s_mov_b32 s1, -1
                                        ; implicit-def: $vgpr1
.LBB14_1547:
	s_and_b32 vcc_lo, exec_lo, s1
	s_cbranch_vccz .LBB14_1549
; %bb.1548:
	global_load_ubyte v1, v[5:6], off
	s_waitcnt vmcnt(0)
	v_lshlrev_b32_e32 v1, 24, v1
	v_and_b32_e32 v3, 0x7f000000, v1
	v_ffbh_u32_e32 v8, v3
	v_add_nc_u32_e32 v10, 0x1000000, v3
	v_cmp_ne_u32_e32 vcc_lo, 0, v3
	v_min_u32_e32 v8, 32, v8
	v_sub_nc_u32_e64 v8, v8, 4 clamp
	v_lshlrev_b32_e32 v9, v8, v3
	v_lshlrev_b32_e32 v8, 23, v8
	v_lshrrev_b32_e32 v9, 4, v9
	v_sub_nc_u32_e32 v8, v9, v8
	v_ashrrev_i32_e32 v9, 8, v10
	v_add_nc_u32_e32 v8, 0x3c000000, v8
	v_and_or_b32 v8, 0x7f800000, v9, v8
	v_cndmask_b32_e32 v3, 0, v8, vcc_lo
	v_and_or_b32 v1, 0x80000000, v1, v3
.LBB14_1549:
	s_mov_b32 s1, 0
.LBB14_1550:
	s_andn2_b32 vcc_lo, exec_lo, s1
	s_cbranch_vccnz .LBB14_1552
; %bb.1551:
	global_load_ubyte v1, v[5:6], off
	s_waitcnt vmcnt(0)
	v_lshlrev_b32_e32 v3, 25, v1
	v_lshlrev_b16 v1, 8, v1
	v_lshrrev_b32_e32 v8, 4, v3
	v_and_or_b32 v9, 0x7f00, v1, 0.5
	v_cmp_gt_u32_e32 vcc_lo, 0x8000000, v3
	v_bfe_i32 v1, v1, 0, 16
	v_or_b32_e32 v8, 0x70000000, v8
	v_add_f32_e32 v9, -0.5, v9
	v_mul_f32_e32 v8, 0x7800000, v8
	v_cndmask_b32_e32 v3, v8, v9, vcc_lo
	v_and_or_b32 v1, 0x80000000, v1, v3
.LBB14_1552:
	s_mov_b32 s1, 0
	s_mov_b32 s3, -1
.LBB14_1553:
	s_andn2_b32 vcc_lo, exec_lo, s1
	s_mov_b32 s1, 0
	s_cbranch_vccnz .LBB14_1564
; %bb.1554:
	s_cmp_gt_i32 s6, 14
	s_cbranch_scc0 .LBB14_1557
; %bb.1555:
	s_cmp_eq_u32 s6, 15
	s_cbranch_scc0 .LBB14_1560
; %bb.1556:
	global_load_ushort v1, v[5:6], off
	s_mov_b32 s0, 0
	s_mov_b32 s3, -1
	s_waitcnt vmcnt(0)
	v_lshlrev_b32_e32 v1, 16, v1
	s_branch .LBB14_1562
.LBB14_1557:
	s_mov_b32 s1, -1
	s_branch .LBB14_1561
.LBB14_1558:
	s_or_saveexec_b32 s3, s3
	v_mov_b32_e32 v1, 0x7f800001
	s_xor_b32 exec_lo, exec_lo, s3
	s_cbranch_execz .LBB14_1539
.LBB14_1559:
	v_cmp_ne_u16_e32 vcc_lo, 0, v3
	v_mov_b32_e32 v1, 0
	s_andn2_b32 s1, s1, exec_lo
	s_and_b32 s10, vcc_lo, exec_lo
	s_or_b32 s1, s1, s10
	s_or_b32 exec_lo, exec_lo, s3
	s_and_saveexec_b32 s3, s1
	s_cbranch_execnz .LBB14_1540
	s_branch .LBB14_1541
.LBB14_1560:
	s_mov_b32 s0, -1
.LBB14_1561:
                                        ; implicit-def: $vgpr1
.LBB14_1562:
	s_and_b32 vcc_lo, exec_lo, s1
	s_mov_b32 s1, 0
	s_cbranch_vccz .LBB14_1564
; %bb.1563:
	s_cmp_lg_u32 s6, 11
	s_mov_b32 s1, -1
	s_cselect_b32 s0, -1, 0
.LBB14_1564:
	s_and_b32 vcc_lo, exec_lo, s0
	s_cbranch_vccnz .LBB14_2108
; %bb.1565:
	s_andn2_b32 vcc_lo, exec_lo, s1
	s_cbranch_vccnz .LBB14_1567
.LBB14_1566:
	global_load_ubyte v1, v[5:6], off
	s_mov_b32 s3, -1
	s_waitcnt vmcnt(0)
	v_cmp_ne_u16_e32 vcc_lo, 0, v1
	v_cndmask_b32_e64 v1, 0, 1.0, vcc_lo
.LBB14_1567:
	s_mov_b32 s0, 0
.LBB14_1568:
	s_and_b32 vcc_lo, exec_lo, s0
	s_cbranch_vccz .LBB14_1617
; %bb.1569:
	s_cmp_lt_i32 s6, 5
	s_cbranch_scc1 .LBB14_1574
; %bb.1570:
	s_cmp_lt_i32 s6, 8
	s_cbranch_scc1 .LBB14_1575
	;; [unrolled: 3-line block ×3, first 2 shown]
; %bb.1572:
	s_cmp_gt_i32 s6, 9
	s_cbranch_scc0 .LBB14_1577
; %bb.1573:
	global_load_dwordx2 v[8:9], v[5:6], off
	s_mov_b32 s0, 0
	s_waitcnt vmcnt(0)
	v_cvt_f32_f64_e32 v1, v[8:9]
	s_branch .LBB14_1578
.LBB14_1574:
	s_mov_b32 s0, -1
                                        ; implicit-def: $vgpr1
	s_branch .LBB14_1596
.LBB14_1575:
	s_mov_b32 s0, -1
                                        ; implicit-def: $vgpr1
	s_branch .LBB14_1584
.LBB14_1576:
	s_mov_b32 s0, -1
                                        ; implicit-def: $vgpr1
	s_branch .LBB14_1581
.LBB14_1577:
	s_mov_b32 s0, -1
                                        ; implicit-def: $vgpr1
.LBB14_1578:
	s_andn2_b32 vcc_lo, exec_lo, s0
	s_cbranch_vccnz .LBB14_1580
; %bb.1579:
	global_load_dword v1, v[5:6], off
.LBB14_1580:
	s_mov_b32 s0, 0
.LBB14_1581:
	s_andn2_b32 vcc_lo, exec_lo, s0
	s_cbranch_vccnz .LBB14_1583
; %bb.1582:
	global_load_dword v1, v[5:6], off
	s_waitcnt vmcnt(0)
	v_cvt_f32_f16_e32 v1, v1
.LBB14_1583:
	s_mov_b32 s0, 0
.LBB14_1584:
	s_andn2_b32 vcc_lo, exec_lo, s0
	s_cbranch_vccnz .LBB14_1595
; %bb.1585:
	s_cmp_lt_i32 s6, 6
	s_cbranch_scc1 .LBB14_1588
; %bb.1586:
	s_cmp_gt_i32 s6, 6
	s_cbranch_scc0 .LBB14_1589
; %bb.1587:
	global_load_dwordx2 v[8:9], v[5:6], off
	s_mov_b32 s0, 0
	s_waitcnt vmcnt(0)
	v_cvt_f32_f64_e32 v1, v[8:9]
	s_branch .LBB14_1590
.LBB14_1588:
	s_mov_b32 s0, -1
                                        ; implicit-def: $vgpr1
	s_branch .LBB14_1593
.LBB14_1589:
	s_mov_b32 s0, -1
                                        ; implicit-def: $vgpr1
.LBB14_1590:
	s_andn2_b32 vcc_lo, exec_lo, s0
	s_cbranch_vccnz .LBB14_1592
; %bb.1591:
	global_load_dword v1, v[5:6], off
.LBB14_1592:
	s_mov_b32 s0, 0
.LBB14_1593:
	s_andn2_b32 vcc_lo, exec_lo, s0
	s_cbranch_vccnz .LBB14_1595
; %bb.1594:
	global_load_ushort v1, v[5:6], off
	s_waitcnt vmcnt(0)
	v_cvt_f32_f16_e32 v1, v1
.LBB14_1595:
	s_mov_b32 s0, 0
.LBB14_1596:
	s_andn2_b32 vcc_lo, exec_lo, s0
	s_cbranch_vccnz .LBB14_1616
; %bb.1597:
	s_cmp_lt_i32 s6, 2
	s_cbranch_scc1 .LBB14_1601
; %bb.1598:
	s_cmp_lt_i32 s6, 3
	s_cbranch_scc1 .LBB14_1602
; %bb.1599:
	s_cmp_gt_i32 s6, 3
	s_cbranch_scc0 .LBB14_1603
; %bb.1600:
	global_load_dwordx2 v[8:9], v[5:6], off
	s_mov_b32 s0, 0
	s_waitcnt vmcnt(0)
	v_xor_b32_e32 v1, v8, v9
	v_ffbh_i32_e32 v3, v9
	v_ashrrev_i32_e32 v1, 31, v1
	v_add_nc_u32_e32 v3, -1, v3
	v_add_nc_u32_e32 v1, 32, v1
	v_min_u32_e32 v1, v3, v1
	v_lshlrev_b64 v[8:9], v1, v[8:9]
	v_sub_nc_u32_e32 v1, 32, v1
	v_min_u32_e32 v3, 1, v8
	v_or_b32_e32 v3, v9, v3
	v_cvt_f32_i32_e32 v3, v3
	v_ldexp_f32 v1, v3, v1
	s_branch .LBB14_1604
.LBB14_1601:
	s_mov_b32 s0, -1
                                        ; implicit-def: $vgpr1
	s_branch .LBB14_1610
.LBB14_1602:
	s_mov_b32 s0, -1
                                        ; implicit-def: $vgpr1
	s_branch .LBB14_1607
.LBB14_1603:
	s_mov_b32 s0, -1
                                        ; implicit-def: $vgpr1
.LBB14_1604:
	s_andn2_b32 vcc_lo, exec_lo, s0
	s_cbranch_vccnz .LBB14_1606
; %bb.1605:
	global_load_dword v1, v[5:6], off
	s_waitcnt vmcnt(0)
	v_cvt_f32_i32_e32 v1, v1
.LBB14_1606:
	s_mov_b32 s0, 0
.LBB14_1607:
	s_andn2_b32 vcc_lo, exec_lo, s0
	s_cbranch_vccnz .LBB14_1609
; %bb.1608:
	global_load_sshort v1, v[5:6], off
	s_waitcnt vmcnt(0)
	v_cvt_f32_i32_e32 v1, v1
.LBB14_1609:
	s_mov_b32 s0, 0
.LBB14_1610:
	s_andn2_b32 vcc_lo, exec_lo, s0
	s_cbranch_vccnz .LBB14_1616
; %bb.1611:
	s_cmp_gt_i32 s6, 0
	s_mov_b32 s0, 0
	s_cbranch_scc0 .LBB14_1613
; %bb.1612:
	global_load_sbyte v1, v[5:6], off
	s_waitcnt vmcnt(0)
	v_cvt_f32_i32_e32 v1, v1
	s_branch .LBB14_1614
.LBB14_1613:
	s_mov_b32 s0, -1
                                        ; implicit-def: $vgpr1
.LBB14_1614:
	s_andn2_b32 vcc_lo, exec_lo, s0
	s_cbranch_vccnz .LBB14_1616
; %bb.1615:
	global_load_ubyte v1, v[5:6], off
	s_waitcnt vmcnt(0)
	v_cvt_f32_ubyte0_e32 v1, v1
.LBB14_1616:
	s_mov_b32 s3, -1
.LBB14_1617:
	s_andn2_b32 vcc_lo, exec_lo, s3
	s_cbranch_vccnz .LBB14_1706
; %bb.1618:
	v_mov_b32_e32 v6, 0
	s_mov_b32 s3, exec_lo
	s_waitcnt vmcnt(0)
	v_cmpx_neq_f32_e64 0x7f800000, |v1|
	s_cbranch_execz .LBB14_1628
; %bb.1619:
                                        ; implicit-def: $vgpr6
	s_mov_b32 s1, exec_lo
	v_cmpx_nlt_f32_e64 |v1|, 0.5
	s_xor_b32 s6, exec_lo, s1
	s_cbranch_execz .LBB14_1625
; %bb.1620:
	v_and_b32_e32 v3, 0x7fffffff, v1
                                        ; implicit-def: $vgpr6
                                        ; implicit-def: $vgpr5
	s_mov_b32 s1, exec_lo
	v_cmpx_ngt_f32_e64 0x48000000, |v1|
	s_xor_b32 s10, exec_lo, s1
	s_cbranch_execz .LBB14_1622
; %bb.1621:
	s_mov_b32 s0, 0x7fffff
	v_mov_b32_e32 v9, 0
	v_and_or_b32 v16, v3, s0, 0x800000
	v_mad_u64_u32 v[5:6], null, 0xfe5163ab, v16, 0
	v_mov_b32_e32 v8, v6
	v_lshrrev_b32_e32 v6, 23, v3
	v_mad_u64_u32 v[10:11], null, 0x3c439041, v16, v[8:9]
	v_add_nc_u32_e32 v6, 0xffffff88, v6
	v_cmp_lt_u32_e32 vcc_lo, 63, v6
	v_mov_b32_e32 v8, v11
	v_cndmask_b32_e64 v15, 0, 0xffffffc0, vcc_lo
	v_mad_u64_u32 v[11:12], null, 0xdb629599, v16, v[8:9]
	v_add_nc_u32_e32 v6, v15, v6
	v_mov_b32_e32 v8, v12
	v_cmp_lt_u32_e64 s0, 31, v6
	v_cndmask_b32_e32 v5, v11, v5, vcc_lo
	v_mad_u64_u32 v[12:13], null, 0xf534ddc0, v16, v[8:9]
	v_cndmask_b32_e64 v17, 0, 0xffffffe0, s0
	v_add_nc_u32_e32 v6, v17, v6
	v_mov_b32_e32 v8, v13
	v_cndmask_b32_e32 v10, v12, v10, vcc_lo
	v_cmp_lt_u32_e64 s1, 31, v6
	v_mad_u64_u32 v[13:14], null, 0xfc2757d1, v16, v[8:9]
	v_cndmask_b32_e64 v5, v10, v5, s0
	v_mov_b32_e32 v8, v14
	v_mad_u64_u32 v[14:15], null, 0x4e441529, v16, v[8:9]
	v_mov_b32_e32 v8, v15
	v_cndmask_b32_e64 v15, 0, 0xffffffe0, s1
	v_mad_u64_u32 v[8:9], null, 0xa2f9836e, v16, v[8:9]
	v_cndmask_b32_e32 v16, v14, v12, vcc_lo
	v_add_nc_u32_e32 v6, v15, v6
	v_cndmask_b32_e32 v8, v8, v13, vcc_lo
	v_cndmask_b32_e32 v9, v9, v14, vcc_lo
	;; [unrolled: 1-line block ×3, first 2 shown]
	v_sub_nc_u32_e32 v14, 32, v6
	v_cmp_eq_u32_e32 vcc_lo, 0, v6
	v_cndmask_b32_e64 v12, v8, v16, s0
	v_cndmask_b32_e64 v8, v9, v8, s0
	;; [unrolled: 1-line block ×8, first 2 shown]
	v_alignbit_b32 v15, v8, v12, v14
	v_alignbit_b32 v11, v12, v9, v14
	v_alignbit_b32 v13, v9, v5, v14
	v_cndmask_b32_e32 v6, v15, v8, vcc_lo
	v_cndmask_b32_e32 v8, v11, v12, vcc_lo
	;; [unrolled: 1-line block ×3, first 2 shown]
	v_bfe_u32 v10, v6, 29, 1
	v_alignbit_b32 v11, v6, v8, 30
	v_alignbit_b32 v8, v8, v9, 30
	;; [unrolled: 1-line block ×3, first 2 shown]
	v_sub_nc_u32_e32 v12, 0, v10
	v_xor_b32_e32 v11, v11, v12
	v_xor_b32_e32 v8, v8, v12
	;; [unrolled: 1-line block ×3, first 2 shown]
	v_lshrrev_b32_e32 v12, 29, v6
	v_lshrrev_b32_e32 v6, 30, v6
	v_ffbh_u32_e32 v13, v11
	v_add_nc_u32_e32 v6, v10, v6
	v_min_u32_e32 v13, 32, v13
	v_sub_nc_u32_e32 v9, 31, v13
	v_lshlrev_b32_e32 v14, 23, v13
	v_alignbit_b32 v11, v11, v8, v9
	v_alignbit_b32 v5, v8, v5, v9
	v_lshlrev_b32_e32 v8, 31, v12
	v_alignbit_b32 v9, v11, v5, 9
	v_or_b32_e32 v12, 0.5, v8
	v_lshrrev_b32_e32 v11, 9, v11
	v_or_b32_e32 v8, 0x33000000, v8
	v_ffbh_u32_e32 v15, v9
	v_sub_nc_u32_e32 v12, v12, v14
	v_min_u32_e32 v14, 32, v15
	v_or_b32_e32 v11, v11, v12
	v_not_b32_e32 v12, v14
	v_mul_f32_e32 v15, 0x3fc90fda, v11
	v_add_lshl_u32 v13, v14, v13, 23
	v_alignbit_b32 v5, v9, v5, v12
	v_fma_f32 v9, 0x3fc90fda, v11, -v15
	v_sub_nc_u32_e32 v8, v8, v13
	v_lshrrev_b32_e32 v5, 9, v5
	v_fmamk_f32 v9, v11, 0x33a22168, v9
	v_or_b32_e32 v5, v8, v5
	v_fmac_f32_e32 v9, 0x3fc90fda, v5
	v_add_f32_e32 v5, v15, v9
.LBB14_1622:
	s_andn2_saveexec_b32 s0, s10
; %bb.1623:
	v_mul_f32_e64 v5, 0x3f22f983, |v1|
	v_rndne_f32_e32 v6, v5
	v_fma_f32 v5, 0xbfc90fda, v6, |v1|
	v_fmamk_f32 v5, v6, 0xb3a22168, v5
	v_fmamk_f32 v5, v6, 0xa7c234c4, v5
	v_cvt_i32_f32_e32 v6, v6
; %bb.1624:
	s_or_b32 exec_lo, exec_lo, s0
	v_mul_f32_e32 v8, v5, v5
	s_mov_b32 s0, 0xb94c1982
	s_mov_b32 s1, 0x37d75334
	v_and_b32_e32 v11, 1, v6
	v_lshlrev_b32_e32 v6, 30, v6
	v_fmaak_f32 v9, s0, v8, 0x3c0881c4
	v_fmaak_f32 v10, s1, v8, 0xbab64f3b
	v_xor_b32_e32 v3, v3, v1
	v_cmp_eq_u32_e32 vcc_lo, 0, v11
	v_and_b32_e32 v6, 0x80000000, v6
	v_fmaak_f32 v9, v8, v9, 0xbe2aaa9d
	v_fmaak_f32 v10, v8, v10, 0x3d2aabf7
	v_mul_f32_e32 v9, v8, v9
	v_fmaak_f32 v10, v8, v10, 0xbf000004
	v_fmac_f32_e32 v5, v5, v9
	v_fma_f32 v8, v8, v10, 1.0
	v_cndmask_b32_e32 v5, v8, v5, vcc_lo
	v_cmp_class_f32_e64 vcc_lo, v1, 0x1f8
	v_xor3_b32 v3, v3, v6, v5
	v_cndmask_b32_e32 v3, 0x7fc00000, v3, vcc_lo
	v_div_scale_f32 v5, null, v1, v1, v3
	v_rcp_f32_e32 v6, v5
	v_fma_f32 v8, -v5, v6, 1.0
	v_fmac_f32_e32 v6, v8, v6
	v_div_scale_f32 v8, vcc_lo, v3, v1, v3
	v_mul_f32_e32 v9, v8, v6
	v_fma_f32 v10, -v5, v9, v8
	v_fmac_f32_e32 v9, v10, v6
	v_fma_f32 v5, -v5, v9, v8
	v_div_fmas_f32 v5, v5, v6, v9
	v_div_fixup_f32 v6, v5, v1, v3
                                        ; implicit-def: $vgpr1
.LBB14_1625:
	s_andn2_saveexec_b32 s0, s6
	s_cbranch_execz .LBB14_1627
; %bb.1626:
	v_mul_f32_e32 v1, v1, v1
	s_mov_b32 s1, 0x2f309231
	v_fmaak_f32 v3, s1, v1, 0xb2d7322b
	v_fmaak_f32 v3, v1, v3, 0x3638ef1d
	;; [unrolled: 1-line block ×5, first 2 shown]
	v_fma_f32 v6, v1, v3, 1.0
.LBB14_1627:
	s_or_b32 exec_lo, exec_lo, s0
.LBB14_1628:
	s_or_b32 exec_lo, exec_lo, s3
	v_mul_lo_u32 v3, s2, v7
	s_and_b32 s1, s4, 0xff
	s_cmp_lt_i32 s1, 11
	v_ashrrev_i32_e32 v1, 31, v3
	v_add_co_u32 v7, vcc_lo, s8, v3
	v_add_co_ci_u32_e64 v8, null, s9, v1, vcc_lo
	s_cbranch_scc1 .LBB14_1751
; %bb.1629:
	s_and_b32 s3, 0xffff, s1
	s_mov_b32 s10, -1
	s_mov_b32 s4, 0
	s_cmp_gt_i32 s3, 25
	s_mov_b32 s6, 0
	s_mov_b32 s0, 0
	s_cbranch_scc0 .LBB14_1662
; %bb.1630:
	s_cmp_gt_i32 s3, 28
	s_cbranch_scc0 .LBB14_1645
; %bb.1631:
	s_cmp_gt_i32 s3, 43
	;; [unrolled: 3-line block ×3, first 2 shown]
	s_cbranch_scc0 .LBB14_1635
; %bb.1633:
	s_mov_b32 s0, -1
	s_mov_b32 s10, 0
	s_cmp_eq_u32 s3, 46
	s_cbranch_scc0 .LBB14_1635
; %bb.1634:
	v_bfe_u32 v1, v0, 16, 1
	v_cmp_o_f32_e32 vcc_lo, v0, v0
	v_mov_b32_e32 v5, 0x7fc0
	s_mov_b32 s0, 0
	s_mov_b32 s6, -1
	v_add3_u32 v1, v0, v1, 0x7fff
	v_cndmask_b32_sdwa v1, v5, v1, vcc_lo dst_sel:DWORD dst_unused:UNUSED_PAD src0_sel:DWORD src1_sel:WORD_1
	global_store_dword v[7:8], v1, off
.LBB14_1635:
	s_and_b32 vcc_lo, exec_lo, s10
	s_cbranch_vccz .LBB14_1640
; %bb.1636:
	s_cmp_eq_u32 s3, 44
	s_mov_b32 s0, -1
	s_cbranch_scc0 .LBB14_1640
; %bb.1637:
	v_bfe_u32 v5, v0, 23, 8
	v_mov_b32_e32 v1, 0xff
	s_mov_b32 s6, exec_lo
	v_cmpx_ne_u32_e32 0xff, v5
	s_cbranch_execz .LBB14_1639
; %bb.1638:
	v_and_b32_e32 v1, 0x400000, v0
	v_and_or_b32 v5, 0x3fffff, v0, v5
	v_cmp_ne_u32_e32 vcc_lo, 0, v1
	v_cmp_ne_u32_e64 s0, 0, v5
	v_lshrrev_b32_e32 v1, 23, v0
	s_and_b32 s0, vcc_lo, s0
	v_cndmask_b32_e64 v5, 0, 1, s0
	v_add_nc_u32_e32 v1, v1, v5
.LBB14_1639:
	s_or_b32 exec_lo, exec_lo, s6
	s_mov_b32 s0, 0
	s_mov_b32 s6, -1
	global_store_byte v[7:8], v1, off
.LBB14_1640:
	s_mov_b32 s10, 0
.LBB14_1641:
	s_and_b32 vcc_lo, exec_lo, s10
	s_cbranch_vccz .LBB14_1644
; %bb.1642:
	s_cmp_eq_u32 s3, 29
	s_mov_b32 s0, -1
	s_cbranch_scc0 .LBB14_1644
; %bb.1643:
	v_trunc_f32_e32 v1, v0
	s_mov_b32 s0, 0
	s_mov_b32 s6, -1
	v_mul_f32_e32 v5, 0x2f800000, v1
	v_floor_f32_e32 v5, v5
	v_fmamk_f32 v1, v5, 0xcf800000, v1
	v_cvt_u32_f32_e32 v10, v5
	v_cvt_u32_f32_e32 v9, v1
	global_store_dwordx2 v[7:8], v[9:10], off
.LBB14_1644:
	s_mov_b32 s10, 0
.LBB14_1645:
	s_and_b32 vcc_lo, exec_lo, s10
	s_cbranch_vccz .LBB14_1661
; %bb.1646:
	s_cmp_lt_i32 s3, 27
	s_mov_b32 s6, -1
	s_cbranch_scc1 .LBB14_1652
; %bb.1647:
	v_cvt_u32_f32_e32 v1, v0
	s_cmp_gt_i32 s3, 27
	s_cbranch_scc0 .LBB14_1649
; %bb.1648:
	s_mov_b32 s6, 0
	global_store_dword v[7:8], v1, off
.LBB14_1649:
	s_andn2_b32 vcc_lo, exec_lo, s6
	s_cbranch_vccnz .LBB14_1651
; %bb.1650:
	global_store_short v[7:8], v1, off
.LBB14_1651:
	s_mov_b32 s6, 0
.LBB14_1652:
	s_andn2_b32 vcc_lo, exec_lo, s6
	s_cbranch_vccnz .LBB14_1660
; %bb.1653:
	v_and_b32_e32 v1, 0x7fffffff, v0
	v_mov_b32_e32 v5, 0x80
	s_mov_b32 s6, exec_lo
	v_cmpx_gt_u32_e32 0x43800000, v1
	s_cbranch_execz .LBB14_1659
; %bb.1654:
	v_cmp_lt_u32_e32 vcc_lo, 0x3bffffff, v1
	s_mov_b32 s10, 0
                                        ; implicit-def: $vgpr1
	s_and_saveexec_b32 s11, vcc_lo
	s_xor_b32 s11, exec_lo, s11
	s_cbranch_execz .LBB14_2109
; %bb.1655:
	v_bfe_u32 v1, v0, 20, 1
	s_mov_b32 s10, exec_lo
	v_add3_u32 v1, v0, v1, 0x487ffff
	v_lshrrev_b32_e32 v1, 20, v1
	s_andn2_saveexec_b32 s11, s11
	s_cbranch_execnz .LBB14_2110
.LBB14_1656:
	s_or_b32 exec_lo, exec_lo, s11
	v_mov_b32_e32 v5, 0
	s_and_saveexec_b32 s11, s10
.LBB14_1657:
	v_lshrrev_b32_e32 v5, 24, v0
	v_and_or_b32 v5, 0x80, v5, v1
.LBB14_1658:
	s_or_b32 exec_lo, exec_lo, s11
.LBB14_1659:
	s_or_b32 exec_lo, exec_lo, s6
	global_store_byte v[7:8], v5, off
.LBB14_1660:
	s_mov_b32 s6, -1
.LBB14_1661:
	s_mov_b32 s10, 0
.LBB14_1662:
	s_and_b32 vcc_lo, exec_lo, s10
	s_cbranch_vccz .LBB14_1702
; %bb.1663:
	s_cmp_gt_i32 s3, 22
	s_mov_b32 s4, -1
	s_cbranch_scc0 .LBB14_1695
; %bb.1664:
	s_cmp_lt_i32 s3, 24
	s_cbranch_scc1 .LBB14_1684
; %bb.1665:
	s_cmp_gt_i32 s3, 24
	s_cbranch_scc0 .LBB14_1673
; %bb.1666:
	v_and_b32_e32 v1, 0x7fffffff, v0
	v_mov_b32_e32 v5, 0x80
	s_mov_b32 s4, exec_lo
	v_cmpx_gt_u32_e32 0x47800000, v1
	s_cbranch_execz .LBB14_1672
; %bb.1667:
	v_cmp_lt_u32_e32 vcc_lo, 0x37ffffff, v1
	s_mov_b32 s6, 0
                                        ; implicit-def: $vgpr1
	s_and_saveexec_b32 s10, vcc_lo
	s_xor_b32 s10, exec_lo, s10
	s_cbranch_execz .LBB14_2112
; %bb.1668:
	v_bfe_u32 v1, v0, 21, 1
	s_mov_b32 s6, exec_lo
	v_add3_u32 v1, v0, v1, 0x88fffff
	v_lshrrev_b32_e32 v1, 21, v1
	s_andn2_saveexec_b32 s10, s10
	s_cbranch_execnz .LBB14_2113
.LBB14_1669:
	s_or_b32 exec_lo, exec_lo, s10
	v_mov_b32_e32 v5, 0
	s_and_saveexec_b32 s10, s6
.LBB14_1670:
	v_lshrrev_b32_e32 v5, 24, v0
	v_and_or_b32 v5, 0x80, v5, v1
.LBB14_1671:
	s_or_b32 exec_lo, exec_lo, s10
.LBB14_1672:
	s_or_b32 exec_lo, exec_lo, s4
	s_mov_b32 s4, 0
	global_store_byte v[7:8], v5, off
.LBB14_1673:
	s_and_b32 vcc_lo, exec_lo, s4
	s_cbranch_vccz .LBB14_1683
; %bb.1674:
	v_and_b32_e32 v5, 0x7fffffff, v0
	s_mov_b32 s4, exec_lo
                                        ; implicit-def: $vgpr1
	v_cmpx_gt_u32_e32 0x43f00000, v5
	s_xor_b32 s4, exec_lo, s4
	s_cbranch_execz .LBB14_1680
; %bb.1675:
	s_mov_b32 s6, exec_lo
                                        ; implicit-def: $vgpr1
	v_cmpx_lt_u32_e32 0x3c7fffff, v5
	s_xor_b32 s6, exec_lo, s6
; %bb.1676:
	v_bfe_u32 v1, v0, 20, 1
	v_add3_u32 v1, v0, v1, 0x407ffff
	v_and_b32_e32 v5, 0xff00000, v1
	v_lshrrev_b32_e32 v1, 20, v1
	v_cmp_ne_u32_e32 vcc_lo, 0x7f00000, v5
	v_cndmask_b32_e32 v1, 0x7e, v1, vcc_lo
; %bb.1677:
	s_andn2_saveexec_b32 s6, s6
; %bb.1678:
	v_add_f32_e64 v1, 0x46800000, |v0|
; %bb.1679:
	s_or_b32 exec_lo, exec_lo, s6
                                        ; implicit-def: $vgpr5
.LBB14_1680:
	s_andn2_saveexec_b32 s4, s4
; %bb.1681:
	v_mov_b32_e32 v1, 0x7f
	v_cmp_lt_u32_e32 vcc_lo, 0x7f800000, v5
	v_cndmask_b32_e32 v1, 0x7e, v1, vcc_lo
; %bb.1682:
	s_or_b32 exec_lo, exec_lo, s4
	v_lshrrev_b32_e32 v5, 24, v0
	v_and_or_b32 v1, 0x80, v5, v1
	global_store_byte v[7:8], v1, off
.LBB14_1683:
	s_mov_b32 s4, 0
.LBB14_1684:
	s_andn2_b32 vcc_lo, exec_lo, s4
	s_cbranch_vccnz .LBB14_1694
; %bb.1685:
	v_and_b32_e32 v5, 0x7fffffff, v0
	s_mov_b32 s4, exec_lo
                                        ; implicit-def: $vgpr1
	v_cmpx_gt_u32_e32 0x47800000, v5
	s_xor_b32 s4, exec_lo, s4
	s_cbranch_execz .LBB14_1691
; %bb.1686:
	s_mov_b32 s6, exec_lo
                                        ; implicit-def: $vgpr1
	v_cmpx_lt_u32_e32 0x387fffff, v5
	s_xor_b32 s6, exec_lo, s6
; %bb.1687:
	v_bfe_u32 v1, v0, 21, 1
	v_add3_u32 v1, v0, v1, 0x80fffff
	v_lshrrev_b32_e32 v1, 21, v1
; %bb.1688:
	s_andn2_saveexec_b32 s6, s6
; %bb.1689:
	v_add_f32_e64 v1, 0x43000000, |v0|
; %bb.1690:
	s_or_b32 exec_lo, exec_lo, s6
                                        ; implicit-def: $vgpr5
.LBB14_1691:
	s_andn2_saveexec_b32 s4, s4
; %bb.1692:
	v_mov_b32_e32 v1, 0x7f
	v_cmp_lt_u32_e32 vcc_lo, 0x7f800000, v5
	v_cndmask_b32_e32 v1, 0x7c, v1, vcc_lo
; %bb.1693:
	s_or_b32 exec_lo, exec_lo, s4
	v_lshrrev_b32_e32 v5, 24, v0
	v_and_or_b32 v1, 0x80, v5, v1
	global_store_byte v[7:8], v1, off
.LBB14_1694:
	s_mov_b32 s4, 0
	s_mov_b32 s6, -1
.LBB14_1695:
	s_andn2_b32 vcc_lo, exec_lo, s4
	s_mov_b32 s4, 0
	s_cbranch_vccnz .LBB14_1702
; %bb.1696:
	s_cmp_gt_i32 s3, 14
	s_mov_b32 s4, -1
	s_cbranch_scc0 .LBB14_1700
; %bb.1697:
	s_cmp_eq_u32 s3, 15
	s_mov_b32 s0, -1
	s_cbranch_scc0 .LBB14_1699
; %bb.1698:
	v_bfe_u32 v1, v0, 16, 1
	v_cmp_o_f32_e32 vcc_lo, v0, v0
	v_mov_b32_e32 v5, 0x7fc0
	s_mov_b32 s0, 0
	s_mov_b32 s6, -1
	v_add3_u32 v1, v0, v1, 0x7fff
	v_cndmask_b32_sdwa v1, v5, v1, vcc_lo dst_sel:DWORD dst_unused:UNUSED_PAD src0_sel:DWORD src1_sel:WORD_1
	global_store_short v[7:8], v1, off
.LBB14_1699:
	s_mov_b32 s4, 0
.LBB14_1700:
	s_and_b32 vcc_lo, exec_lo, s4
	s_mov_b32 s4, 0
	s_cbranch_vccz .LBB14_1702
; %bb.1701:
	s_cmp_lg_u32 s3, 11
	s_mov_b32 s4, -1
	s_cselect_b32 s0, -1, 0
.LBB14_1702:
	s_and_b32 vcc_lo, exec_lo, s0
	s_cbranch_vccnz .LBB14_2111
; %bb.1703:
	s_andn2_b32 vcc_lo, exec_lo, s4
	s_cbranch_vccnz .LBB14_1705
.LBB14_1704:
	v_cmp_neq_f32_e32 vcc_lo, 0, v0
	s_mov_b32 s6, -1
	v_cndmask_b32_e64 v1, 0, 1, vcc_lo
	global_store_byte v[7:8], v1, off
.LBB14_1705:
	s_mov_b32 s0, 0
	s_branch .LBB14_1752
.LBB14_1706:
	s_mov_b32 s0, 0
	s_mov_b32 s3, 0
                                        ; implicit-def: $sgpr1
                                        ; implicit-def: $vgpr0_vgpr1
                                        ; implicit-def: $vgpr6
.LBB14_1707:
	s_andn2_b32 s2, s12, exec_lo
	s_and_b32 s4, s5, exec_lo
	s_and_b32 s0, s0, exec_lo
	;; [unrolled: 1-line block ×3, first 2 shown]
	s_or_b32 s12, s2, s4
.LBB14_1708:
	s_or_b32 exec_lo, exec_lo, s7
	s_and_saveexec_b32 s2, s12
	s_cbranch_execz .LBB14_1711
; %bb.1709:
	; divergent unreachable
	s_or_b32 exec_lo, exec_lo, s2
	s_and_saveexec_b32 s2, s5
	s_xor_b32 s2, exec_lo, s2
	s_cbranch_execnz .LBB14_1712
.LBB14_1710:
	s_or_b32 exec_lo, exec_lo, s2
	s_and_saveexec_b32 s2, s0
	s_cbranch_execnz .LBB14_1713
	s_branch .LBB14_1750
.LBB14_1711:
	s_or_b32 exec_lo, exec_lo, s2
	s_and_saveexec_b32 s2, s5
	s_xor_b32 s2, exec_lo, s2
	s_cbranch_execz .LBB14_1710
.LBB14_1712:
	v_cmp_neq_f32_e32 vcc_lo, 0, v6
	s_waitcnt vmcnt(0)
	v_cndmask_b32_e64 v2, 0, 1, vcc_lo
	global_store_byte v[0:1], v2, off
	s_or_b32 exec_lo, exec_lo, s2
	s_and_saveexec_b32 s2, s0
	s_cbranch_execz .LBB14_1750
.LBB14_1713:
	s_sext_i32_i16 s2, s1
	s_mov_b32 s0, -1
	s_cmp_lt_i32 s2, 5
	s_cbranch_scc1 .LBB14_1734
; %bb.1714:
	s_cmp_lt_i32 s2, 8
	s_cbranch_scc1 .LBB14_1724
; %bb.1715:
	s_cmp_lt_i32 s2, 9
	s_cbranch_scc1 .LBB14_1721
; %bb.1716:
	s_cmp_gt_i32 s2, 9
	s_cbranch_scc0 .LBB14_1718
; %bb.1717:
	s_waitcnt vmcnt(0)
	v_cvt_f64_f32_e32 v[2:3], v6
	v_mov_b32_e32 v4, 0
	s_mov_b32 s0, 0
	v_mov_b32_e32 v5, v4
	global_store_dwordx4 v[0:1], v[2:5], off
.LBB14_1718:
	s_andn2_b32 vcc_lo, exec_lo, s0
	s_cbranch_vccnz .LBB14_1720
; %bb.1719:
	v_mov_b32_e32 v7, 0
	s_waitcnt vmcnt(0)
	global_store_dwordx2 v[0:1], v[6:7], off
.LBB14_1720:
	s_mov_b32 s0, 0
.LBB14_1721:
	s_andn2_b32 vcc_lo, exec_lo, s0
	s_cbranch_vccnz .LBB14_1723
; %bb.1722:
	s_waitcnt vmcnt(0)
	v_cvt_f16_f32_e32 v2, v6
	v_and_b32_e32 v2, 0xffff, v2
	global_store_dword v[0:1], v2, off
.LBB14_1723:
	s_mov_b32 s0, 0
.LBB14_1724:
	s_andn2_b32 vcc_lo, exec_lo, s0
	s_cbranch_vccnz .LBB14_1733
; %bb.1725:
	s_sext_i32_i16 s2, s1
	s_mov_b32 s0, -1
	s_cmp_lt_i32 s2, 6
	s_cbranch_scc1 .LBB14_1731
; %bb.1726:
	s_cmp_gt_i32 s2, 6
	s_cbranch_scc0 .LBB14_1728
; %bb.1727:
	s_waitcnt vmcnt(0)
	v_cvt_f64_f32_e32 v[2:3], v6
	s_mov_b32 s0, 0
	global_store_dwordx2 v[0:1], v[2:3], off
.LBB14_1728:
	s_andn2_b32 vcc_lo, exec_lo, s0
	s_cbranch_vccnz .LBB14_1730
; %bb.1729:
	s_waitcnt vmcnt(0)
	global_store_dword v[0:1], v6, off
.LBB14_1730:
	s_mov_b32 s0, 0
.LBB14_1731:
	s_andn2_b32 vcc_lo, exec_lo, s0
	s_cbranch_vccnz .LBB14_1733
; %bb.1732:
	s_waitcnt vmcnt(0)
	v_cvt_f16_f32_e32 v2, v6
	global_store_short v[0:1], v2, off
.LBB14_1733:
	s_mov_b32 s0, 0
.LBB14_1734:
	s_andn2_b32 vcc_lo, exec_lo, s0
	s_cbranch_vccnz .LBB14_1750
; %bb.1735:
	s_sext_i32_i16 s2, s1
	s_mov_b32 s0, -1
	s_cmp_lt_i32 s2, 2
	s_cbranch_scc1 .LBB14_1745
; %bb.1736:
	s_cmp_lt_i32 s2, 3
	s_cbranch_scc1 .LBB14_1742
; %bb.1737:
	s_cmp_gt_i32 s2, 3
	s_cbranch_scc0 .LBB14_1739
; %bb.1738:
	s_waitcnt vmcnt(0)
	v_trunc_f32_e32 v2, v6
	s_mov_b32 s0, 0
	v_mul_f32_e64 v3, 0x2f800000, |v2|
	v_ashrrev_i32_e32 v5, 31, v2
	v_floor_f32_e32 v3, v3
	v_fma_f32 v4, 0xcf800000, v3, |v2|
	v_cvt_u32_f32_e32 v3, v3
	v_cvt_u32_f32_e32 v2, v4
	v_xor_b32_e32 v3, v3, v5
	v_xor_b32_e32 v2, v2, v5
	v_sub_co_u32 v2, vcc_lo, v2, v5
	v_sub_co_ci_u32_e64 v3, null, v3, v5, vcc_lo
	global_store_dwordx2 v[0:1], v[2:3], off
.LBB14_1739:
	s_andn2_b32 vcc_lo, exec_lo, s0
	s_cbranch_vccnz .LBB14_1741
; %bb.1740:
	s_waitcnt vmcnt(0)
	v_cvt_i32_f32_e32 v2, v6
	global_store_dword v[0:1], v2, off
.LBB14_1741:
	s_mov_b32 s0, 0
.LBB14_1742:
	s_andn2_b32 vcc_lo, exec_lo, s0
	s_cbranch_vccnz .LBB14_1744
; %bb.1743:
	s_waitcnt vmcnt(0)
	v_cvt_i32_f32_e32 v2, v6
	global_store_short v[0:1], v2, off
.LBB14_1744:
	s_mov_b32 s0, 0
.LBB14_1745:
	s_andn2_b32 vcc_lo, exec_lo, s0
	s_cbranch_vccnz .LBB14_1750
; %bb.1746:
	s_sext_i32_i16 s0, s1
	s_cmp_gt_i32 s0, 0
	s_mov_b32 s0, -1
	s_cbranch_scc0 .LBB14_1748
; %bb.1747:
	s_waitcnt vmcnt(0)
	v_cvt_i32_f32_e32 v2, v6
	s_mov_b32 s0, 0
	global_store_byte v[0:1], v2, off
.LBB14_1748:
	s_andn2_b32 vcc_lo, exec_lo, s0
	s_cbranch_vccnz .LBB14_1750
; %bb.1749:
	s_waitcnt vmcnt(0)
	v_trunc_f32_e32 v2, v6
	v_mul_f32_e64 v3, 0x2f800000, |v2|
	v_floor_f32_e32 v3, v3
	v_fma_f32 v3, 0xcf800000, v3, |v2|
	v_ashrrev_i32_e32 v2, 31, v2
	v_cvt_u32_f32_e32 v3, v3
	v_xor_b32_e32 v3, v3, v2
	v_sub_nc_u32_e32 v2, v3, v2
	global_store_byte v[0:1], v2, off
	s_endpgm
.LBB14_1750:
	s_endpgm
.LBB14_1751:
	s_mov_b32 s0, -1
	s_mov_b32 s6, 0
.LBB14_1752:
	s_and_b32 vcc_lo, exec_lo, s0
	s_cbranch_vccz .LBB14_1791
; %bb.1753:
	s_and_b32 s0, 0xffff, s1
	s_mov_b32 s3, -1
	s_cmp_lt_i32 s0, 5
	s_cbranch_scc1 .LBB14_1774
; %bb.1754:
	s_cmp_lt_i32 s0, 8
	s_cbranch_scc1 .LBB14_1764
; %bb.1755:
	;; [unrolled: 3-line block ×3, first 2 shown]
	s_cmp_gt_i32 s0, 9
	s_cbranch_scc0 .LBB14_1758
; %bb.1757:
	v_cvt_f64_f32_e32 v[9:10], v0
	v_mov_b32_e32 v11, 0
	s_mov_b32 s3, 0
	v_mov_b32_e32 v12, v11
	global_store_dwordx4 v[7:8], v[9:12], off
.LBB14_1758:
	s_andn2_b32 vcc_lo, exec_lo, s3
	s_cbranch_vccnz .LBB14_1760
; %bb.1759:
	v_mov_b32_e32 v1, 0
	global_store_dwordx2 v[7:8], v[0:1], off
.LBB14_1760:
	s_mov_b32 s3, 0
.LBB14_1761:
	s_andn2_b32 vcc_lo, exec_lo, s3
	s_cbranch_vccnz .LBB14_1763
; %bb.1762:
	v_cvt_f16_f32_e32 v1, v0
	v_and_b32_e32 v1, 0xffff, v1
	global_store_dword v[7:8], v1, off
.LBB14_1763:
	s_mov_b32 s3, 0
.LBB14_1764:
	s_andn2_b32 vcc_lo, exec_lo, s3
	s_cbranch_vccnz .LBB14_1773
; %bb.1765:
	s_cmp_lt_i32 s0, 6
	s_mov_b32 s3, -1
	s_cbranch_scc1 .LBB14_1771
; %bb.1766:
	s_cmp_gt_i32 s0, 6
	s_cbranch_scc0 .LBB14_1768
; %bb.1767:
	v_cvt_f64_f32_e32 v[9:10], v0
	s_mov_b32 s3, 0
	global_store_dwordx2 v[7:8], v[9:10], off
.LBB14_1768:
	s_andn2_b32 vcc_lo, exec_lo, s3
	s_cbranch_vccnz .LBB14_1770
; %bb.1769:
	global_store_dword v[7:8], v0, off
.LBB14_1770:
	s_mov_b32 s3, 0
.LBB14_1771:
	s_andn2_b32 vcc_lo, exec_lo, s3
	s_cbranch_vccnz .LBB14_1773
; %bb.1772:
	v_cvt_f16_f32_e32 v1, v0
	global_store_short v[7:8], v1, off
.LBB14_1773:
	s_mov_b32 s3, 0
.LBB14_1774:
	s_andn2_b32 vcc_lo, exec_lo, s3
	s_cbranch_vccnz .LBB14_1790
; %bb.1775:
	s_cmp_lt_i32 s0, 2
	s_mov_b32 s3, -1
	s_cbranch_scc1 .LBB14_1785
; %bb.1776:
	s_cmp_lt_i32 s0, 3
	s_cbranch_scc1 .LBB14_1782
; %bb.1777:
	s_cmp_gt_i32 s0, 3
	s_cbranch_scc0 .LBB14_1779
; %bb.1778:
	v_trunc_f32_e32 v1, v0
	s_mov_b32 s3, 0
	v_mul_f32_e64 v5, 0x2f800000, |v1|
	v_floor_f32_e32 v5, v5
	v_fma_f32 v9, 0xcf800000, v5, |v1|
	v_ashrrev_i32_e32 v1, 31, v1
	v_cvt_u32_f32_e32 v5, v5
	v_cvt_u32_f32_e32 v9, v9
	v_xor_b32_e32 v5, v5, v1
	v_xor_b32_e32 v9, v9, v1
	v_sub_co_u32 v9, vcc_lo, v9, v1
	v_sub_co_ci_u32_e64 v10, null, v5, v1, vcc_lo
	global_store_dwordx2 v[7:8], v[9:10], off
.LBB14_1779:
	s_andn2_b32 vcc_lo, exec_lo, s3
	s_cbranch_vccnz .LBB14_1781
; %bb.1780:
	v_cvt_i32_f32_e32 v1, v0
	global_store_dword v[7:8], v1, off
.LBB14_1781:
	s_mov_b32 s3, 0
.LBB14_1782:
	s_andn2_b32 vcc_lo, exec_lo, s3
	s_cbranch_vccnz .LBB14_1784
; %bb.1783:
	v_cvt_i32_f32_e32 v1, v0
	global_store_short v[7:8], v1, off
.LBB14_1784:
	s_mov_b32 s3, 0
.LBB14_1785:
	s_andn2_b32 vcc_lo, exec_lo, s3
	s_cbranch_vccnz .LBB14_1790
; %bb.1786:
	s_cmp_gt_i32 s0, 0
	s_mov_b32 s0, -1
	s_cbranch_scc0 .LBB14_1788
; %bb.1787:
	v_cvt_i32_f32_e32 v1, v0
	s_mov_b32 s0, 0
	global_store_byte v[7:8], v1, off
.LBB14_1788:
	s_andn2_b32 vcc_lo, exec_lo, s0
	s_cbranch_vccnz .LBB14_1790
; %bb.1789:
	v_trunc_f32_e32 v0, v0
	v_mul_f32_e64 v1, 0x2f800000, |v0|
	v_floor_f32_e32 v1, v1
	v_fma_f32 v1, 0xcf800000, v1, |v0|
	v_ashrrev_i32_e32 v0, 31, v0
	v_cvt_u32_f32_e32 v1, v1
	v_xor_b32_e32 v1, v1, v0
	v_sub_nc_u32_e32 v0, v1, v0
	global_store_byte v[7:8], v0, off
.LBB14_1790:
	s_mov_b32 s6, -1
.LBB14_1791:
	s_andn2_b32 vcc_lo, exec_lo, s6
	s_cbranch_vccnz .LBB14_2106
; %bb.1792:
	s_lshl_b32 s2, s2, 7
	s_cmp_lt_i32 s1, 11
	v_add_nc_u32_e32 v5, s2, v3
	v_ashrrev_i32_e32 v1, 31, v5
	v_add_co_u32 v0, vcc_lo, s8, v5
	v_add_co_ci_u32_e64 v1, null, s9, v1, vcc_lo
	s_cbranch_scc1 .LBB14_1870
; %bb.1793:
	s_and_b32 s3, 0xffff, s1
	s_mov_b32 s10, -1
	s_mov_b32 s4, 0
	s_cmp_gt_i32 s3, 25
	s_mov_b32 s6, 0
	s_mov_b32 s0, 0
	s_cbranch_scc0 .LBB14_1826
; %bb.1794:
	s_cmp_gt_i32 s3, 28
	s_cbranch_scc0 .LBB14_1809
; %bb.1795:
	s_cmp_gt_i32 s3, 43
	;; [unrolled: 3-line block ×3, first 2 shown]
	s_cbranch_scc0 .LBB14_1799
; %bb.1797:
	s_mov_b32 s0, -1
	s_mov_b32 s10, 0
	s_cmp_eq_u32 s3, 46
	s_cbranch_scc0 .LBB14_1799
; %bb.1798:
	v_bfe_u32 v3, v2, 16, 1
	v_cmp_o_f32_e32 vcc_lo, v2, v2
	v_mov_b32_e32 v7, 0x7fc0
	s_mov_b32 s0, 0
	s_mov_b32 s6, -1
	v_add3_u32 v3, v2, v3, 0x7fff
	v_cndmask_b32_sdwa v3, v7, v3, vcc_lo dst_sel:DWORD dst_unused:UNUSED_PAD src0_sel:DWORD src1_sel:WORD_1
	global_store_dword v[0:1], v3, off
.LBB14_1799:
	s_and_b32 vcc_lo, exec_lo, s10
	s_cbranch_vccz .LBB14_1804
; %bb.1800:
	s_cmp_eq_u32 s3, 44
	s_mov_b32 s0, -1
	s_cbranch_scc0 .LBB14_1804
; %bb.1801:
	v_bfe_u32 v7, v2, 23, 8
	v_mov_b32_e32 v3, 0xff
	s_mov_b32 s6, exec_lo
	v_cmpx_ne_u32_e32 0xff, v7
	s_cbranch_execz .LBB14_1803
; %bb.1802:
	v_and_b32_e32 v3, 0x400000, v2
	v_and_or_b32 v7, 0x3fffff, v2, v7
	v_cmp_ne_u32_e32 vcc_lo, 0, v3
	v_cmp_ne_u32_e64 s0, 0, v7
	v_lshrrev_b32_e32 v3, 23, v2
	s_and_b32 s0, vcc_lo, s0
	v_cndmask_b32_e64 v7, 0, 1, s0
	v_add_nc_u32_e32 v3, v3, v7
.LBB14_1803:
	s_or_b32 exec_lo, exec_lo, s6
	s_mov_b32 s0, 0
	s_mov_b32 s6, -1
	global_store_byte v[0:1], v3, off
.LBB14_1804:
	s_mov_b32 s10, 0
.LBB14_1805:
	s_and_b32 vcc_lo, exec_lo, s10
	s_cbranch_vccz .LBB14_1808
; %bb.1806:
	s_cmp_eq_u32 s3, 29
	s_mov_b32 s0, -1
	s_cbranch_scc0 .LBB14_1808
; %bb.1807:
	v_trunc_f32_e32 v3, v2
	s_mov_b32 s0, 0
	s_mov_b32 s6, -1
	v_mul_f32_e32 v7, 0x2f800000, v3
	v_floor_f32_e32 v7, v7
	v_fmamk_f32 v3, v7, 0xcf800000, v3
	v_cvt_u32_f32_e32 v8, v7
	v_cvt_u32_f32_e32 v7, v3
	global_store_dwordx2 v[0:1], v[7:8], off
.LBB14_1808:
	s_mov_b32 s10, 0
.LBB14_1809:
	s_and_b32 vcc_lo, exec_lo, s10
	s_cbranch_vccz .LBB14_1825
; %bb.1810:
	s_cmp_lt_i32 s3, 27
	s_mov_b32 s6, -1
	s_cbranch_scc1 .LBB14_1816
; %bb.1811:
	v_cvt_u32_f32_e32 v3, v2
	s_cmp_gt_i32 s3, 27
	s_cbranch_scc0 .LBB14_1813
; %bb.1812:
	s_mov_b32 s6, 0
	global_store_dword v[0:1], v3, off
.LBB14_1813:
	s_andn2_b32 vcc_lo, exec_lo, s6
	s_cbranch_vccnz .LBB14_1815
; %bb.1814:
	global_store_short v[0:1], v3, off
.LBB14_1815:
	s_mov_b32 s6, 0
.LBB14_1816:
	s_andn2_b32 vcc_lo, exec_lo, s6
	s_cbranch_vccnz .LBB14_1824
; %bb.1817:
	v_and_b32_e32 v3, 0x7fffffff, v2
	v_mov_b32_e32 v7, 0x80
	s_mov_b32 s6, exec_lo
	v_cmpx_gt_u32_e32 0x43800000, v3
	s_cbranch_execz .LBB14_1823
; %bb.1818:
	v_cmp_lt_u32_e32 vcc_lo, 0x3bffffff, v3
	s_mov_b32 s10, 0
                                        ; implicit-def: $vgpr3
	s_and_saveexec_b32 s11, vcc_lo
	s_xor_b32 s11, exec_lo, s11
	s_cbranch_execz .LBB14_2114
; %bb.1819:
	v_bfe_u32 v3, v2, 20, 1
	s_mov_b32 s10, exec_lo
	v_add3_u32 v3, v2, v3, 0x487ffff
	v_lshrrev_b32_e32 v3, 20, v3
	s_andn2_saveexec_b32 s11, s11
	s_cbranch_execnz .LBB14_2115
.LBB14_1820:
	s_or_b32 exec_lo, exec_lo, s11
	v_mov_b32_e32 v7, 0
	s_and_saveexec_b32 s11, s10
.LBB14_1821:
	v_lshrrev_b32_e32 v7, 24, v2
	v_and_or_b32 v7, 0x80, v7, v3
.LBB14_1822:
	s_or_b32 exec_lo, exec_lo, s11
.LBB14_1823:
	s_or_b32 exec_lo, exec_lo, s6
	global_store_byte v[0:1], v7, off
.LBB14_1824:
	s_mov_b32 s6, -1
.LBB14_1825:
	s_mov_b32 s10, 0
.LBB14_1826:
	s_and_b32 vcc_lo, exec_lo, s10
	s_cbranch_vccz .LBB14_1866
; %bb.1827:
	s_cmp_gt_i32 s3, 22
	s_mov_b32 s4, -1
	s_cbranch_scc0 .LBB14_1859
; %bb.1828:
	s_cmp_lt_i32 s3, 24
	s_cbranch_scc1 .LBB14_1848
; %bb.1829:
	s_cmp_gt_i32 s3, 24
	s_cbranch_scc0 .LBB14_1837
; %bb.1830:
	v_and_b32_e32 v3, 0x7fffffff, v2
	v_mov_b32_e32 v7, 0x80
	s_mov_b32 s4, exec_lo
	v_cmpx_gt_u32_e32 0x47800000, v3
	s_cbranch_execz .LBB14_1836
; %bb.1831:
	v_cmp_lt_u32_e32 vcc_lo, 0x37ffffff, v3
	s_mov_b32 s6, 0
                                        ; implicit-def: $vgpr3
	s_and_saveexec_b32 s10, vcc_lo
	s_xor_b32 s10, exec_lo, s10
	s_cbranch_execz .LBB14_2117
; %bb.1832:
	v_bfe_u32 v3, v2, 21, 1
	s_mov_b32 s6, exec_lo
	v_add3_u32 v3, v2, v3, 0x88fffff
	v_lshrrev_b32_e32 v3, 21, v3
	s_andn2_saveexec_b32 s10, s10
	s_cbranch_execnz .LBB14_2118
.LBB14_1833:
	s_or_b32 exec_lo, exec_lo, s10
	v_mov_b32_e32 v7, 0
	s_and_saveexec_b32 s10, s6
.LBB14_1834:
	v_lshrrev_b32_e32 v7, 24, v2
	v_and_or_b32 v7, 0x80, v7, v3
.LBB14_1835:
	s_or_b32 exec_lo, exec_lo, s10
.LBB14_1836:
	s_or_b32 exec_lo, exec_lo, s4
	s_mov_b32 s4, 0
	global_store_byte v[0:1], v7, off
.LBB14_1837:
	s_and_b32 vcc_lo, exec_lo, s4
	s_cbranch_vccz .LBB14_1847
; %bb.1838:
	v_and_b32_e32 v7, 0x7fffffff, v2
	s_mov_b32 s4, exec_lo
                                        ; implicit-def: $vgpr3
	v_cmpx_gt_u32_e32 0x43f00000, v7
	s_xor_b32 s4, exec_lo, s4
	s_cbranch_execz .LBB14_1844
; %bb.1839:
	s_mov_b32 s6, exec_lo
                                        ; implicit-def: $vgpr3
	v_cmpx_lt_u32_e32 0x3c7fffff, v7
	s_xor_b32 s6, exec_lo, s6
; %bb.1840:
	v_bfe_u32 v3, v2, 20, 1
	v_add3_u32 v3, v2, v3, 0x407ffff
	v_and_b32_e32 v7, 0xff00000, v3
	v_lshrrev_b32_e32 v3, 20, v3
	v_cmp_ne_u32_e32 vcc_lo, 0x7f00000, v7
	v_cndmask_b32_e32 v3, 0x7e, v3, vcc_lo
; %bb.1841:
	s_andn2_saveexec_b32 s6, s6
; %bb.1842:
	v_add_f32_e64 v3, 0x46800000, |v2|
; %bb.1843:
	s_or_b32 exec_lo, exec_lo, s6
                                        ; implicit-def: $vgpr7
.LBB14_1844:
	s_andn2_saveexec_b32 s4, s4
; %bb.1845:
	v_mov_b32_e32 v3, 0x7f
	v_cmp_lt_u32_e32 vcc_lo, 0x7f800000, v7
	v_cndmask_b32_e32 v3, 0x7e, v3, vcc_lo
; %bb.1846:
	s_or_b32 exec_lo, exec_lo, s4
	v_lshrrev_b32_e32 v7, 24, v2
	v_and_or_b32 v3, 0x80, v7, v3
	global_store_byte v[0:1], v3, off
.LBB14_1847:
	s_mov_b32 s4, 0
.LBB14_1848:
	s_andn2_b32 vcc_lo, exec_lo, s4
	s_cbranch_vccnz .LBB14_1858
; %bb.1849:
	v_and_b32_e32 v7, 0x7fffffff, v2
	s_mov_b32 s4, exec_lo
                                        ; implicit-def: $vgpr3
	v_cmpx_gt_u32_e32 0x47800000, v7
	s_xor_b32 s4, exec_lo, s4
	s_cbranch_execz .LBB14_1855
; %bb.1850:
	s_mov_b32 s6, exec_lo
                                        ; implicit-def: $vgpr3
	v_cmpx_lt_u32_e32 0x387fffff, v7
	s_xor_b32 s6, exec_lo, s6
; %bb.1851:
	v_bfe_u32 v3, v2, 21, 1
	v_add3_u32 v3, v2, v3, 0x80fffff
	v_lshrrev_b32_e32 v3, 21, v3
; %bb.1852:
	s_andn2_saveexec_b32 s6, s6
; %bb.1853:
	v_add_f32_e64 v3, 0x43000000, |v2|
; %bb.1854:
	s_or_b32 exec_lo, exec_lo, s6
                                        ; implicit-def: $vgpr7
.LBB14_1855:
	s_andn2_saveexec_b32 s4, s4
; %bb.1856:
	v_mov_b32_e32 v3, 0x7f
	v_cmp_lt_u32_e32 vcc_lo, 0x7f800000, v7
	v_cndmask_b32_e32 v3, 0x7c, v3, vcc_lo
; %bb.1857:
	s_or_b32 exec_lo, exec_lo, s4
	v_lshrrev_b32_e32 v7, 24, v2
	v_and_or_b32 v3, 0x80, v7, v3
	global_store_byte v[0:1], v3, off
.LBB14_1858:
	s_mov_b32 s4, 0
	s_mov_b32 s6, -1
.LBB14_1859:
	s_andn2_b32 vcc_lo, exec_lo, s4
	s_mov_b32 s4, 0
	s_cbranch_vccnz .LBB14_1866
; %bb.1860:
	s_cmp_gt_i32 s3, 14
	s_mov_b32 s4, -1
	s_cbranch_scc0 .LBB14_1864
; %bb.1861:
	s_cmp_eq_u32 s3, 15
	s_mov_b32 s0, -1
	s_cbranch_scc0 .LBB14_1863
; %bb.1862:
	v_bfe_u32 v3, v2, 16, 1
	v_cmp_o_f32_e32 vcc_lo, v2, v2
	v_mov_b32_e32 v7, 0x7fc0
	s_mov_b32 s0, 0
	s_mov_b32 s6, -1
	v_add3_u32 v3, v2, v3, 0x7fff
	v_cndmask_b32_sdwa v3, v7, v3, vcc_lo dst_sel:DWORD dst_unused:UNUSED_PAD src0_sel:DWORD src1_sel:WORD_1
	global_store_short v[0:1], v3, off
.LBB14_1863:
	s_mov_b32 s4, 0
.LBB14_1864:
	s_and_b32 vcc_lo, exec_lo, s4
	s_mov_b32 s4, 0
	s_cbranch_vccz .LBB14_1866
; %bb.1865:
	s_cmp_lg_u32 s3, 11
	s_mov_b32 s4, -1
	s_cselect_b32 s0, -1, 0
.LBB14_1866:
	s_and_b32 vcc_lo, exec_lo, s0
	s_cbranch_vccnz .LBB14_2116
; %bb.1867:
	s_andn2_b32 vcc_lo, exec_lo, s4
	s_cbranch_vccnz .LBB14_1869
.LBB14_1868:
	v_cmp_neq_f32_e32 vcc_lo, 0, v2
	s_mov_b32 s6, -1
	v_cndmask_b32_e64 v3, 0, 1, vcc_lo
	global_store_byte v[0:1], v3, off
.LBB14_1869:
	s_mov_b32 s0, 0
	s_branch .LBB14_1871
.LBB14_1870:
	s_mov_b32 s0, -1
	s_mov_b32 s6, 0
.LBB14_1871:
	s_and_b32 vcc_lo, exec_lo, s0
	s_cbranch_vccz .LBB14_1910
; %bb.1872:
	s_and_b32 s0, 0xffff, s1
	s_mov_b32 s3, -1
	s_cmp_lt_i32 s0, 5
	s_cbranch_scc1 .LBB14_1893
; %bb.1873:
	s_cmp_lt_i32 s0, 8
	s_cbranch_scc1 .LBB14_1883
; %bb.1874:
	;; [unrolled: 3-line block ×3, first 2 shown]
	s_cmp_gt_i32 s0, 9
	s_cbranch_scc0 .LBB14_1877
; %bb.1876:
	v_cvt_f64_f32_e32 v[7:8], v2
	v_mov_b32_e32 v9, 0
	s_mov_b32 s3, 0
	v_mov_b32_e32 v10, v9
	global_store_dwordx4 v[0:1], v[7:10], off
.LBB14_1877:
	s_andn2_b32 vcc_lo, exec_lo, s3
	s_cbranch_vccnz .LBB14_1879
; %bb.1878:
	v_mov_b32_e32 v3, 0
	global_store_dwordx2 v[0:1], v[2:3], off
.LBB14_1879:
	s_mov_b32 s3, 0
.LBB14_1880:
	s_andn2_b32 vcc_lo, exec_lo, s3
	s_cbranch_vccnz .LBB14_1882
; %bb.1881:
	v_cvt_f16_f32_e32 v3, v2
	v_and_b32_e32 v3, 0xffff, v3
	global_store_dword v[0:1], v3, off
.LBB14_1882:
	s_mov_b32 s3, 0
.LBB14_1883:
	s_andn2_b32 vcc_lo, exec_lo, s3
	s_cbranch_vccnz .LBB14_1892
; %bb.1884:
	s_cmp_lt_i32 s0, 6
	s_mov_b32 s3, -1
	s_cbranch_scc1 .LBB14_1890
; %bb.1885:
	s_cmp_gt_i32 s0, 6
	s_cbranch_scc0 .LBB14_1887
; %bb.1886:
	v_cvt_f64_f32_e32 v[7:8], v2
	s_mov_b32 s3, 0
	global_store_dwordx2 v[0:1], v[7:8], off
.LBB14_1887:
	s_andn2_b32 vcc_lo, exec_lo, s3
	s_cbranch_vccnz .LBB14_1889
; %bb.1888:
	global_store_dword v[0:1], v2, off
.LBB14_1889:
	s_mov_b32 s3, 0
.LBB14_1890:
	s_andn2_b32 vcc_lo, exec_lo, s3
	s_cbranch_vccnz .LBB14_1892
; %bb.1891:
	v_cvt_f16_f32_e32 v3, v2
	global_store_short v[0:1], v3, off
.LBB14_1892:
	s_mov_b32 s3, 0
.LBB14_1893:
	s_andn2_b32 vcc_lo, exec_lo, s3
	s_cbranch_vccnz .LBB14_1909
; %bb.1894:
	s_cmp_lt_i32 s0, 2
	s_mov_b32 s3, -1
	s_cbranch_scc1 .LBB14_1904
; %bb.1895:
	s_cmp_lt_i32 s0, 3
	s_cbranch_scc1 .LBB14_1901
; %bb.1896:
	s_cmp_gt_i32 s0, 3
	s_cbranch_scc0 .LBB14_1898
; %bb.1897:
	v_trunc_f32_e32 v3, v2
	s_mov_b32 s3, 0
	v_mul_f32_e64 v7, 0x2f800000, |v3|
	v_floor_f32_e32 v7, v7
	v_fma_f32 v8, 0xcf800000, v7, |v3|
	v_ashrrev_i32_e32 v3, 31, v3
	v_cvt_u32_f32_e32 v7, v7
	v_cvt_u32_f32_e32 v8, v8
	v_xor_b32_e32 v9, v7, v3
	v_xor_b32_e32 v8, v8, v3
	v_sub_co_u32 v7, vcc_lo, v8, v3
	v_sub_co_ci_u32_e64 v8, null, v9, v3, vcc_lo
	global_store_dwordx2 v[0:1], v[7:8], off
.LBB14_1898:
	s_andn2_b32 vcc_lo, exec_lo, s3
	s_cbranch_vccnz .LBB14_1900
; %bb.1899:
	v_cvt_i32_f32_e32 v3, v2
	global_store_dword v[0:1], v3, off
.LBB14_1900:
	s_mov_b32 s3, 0
.LBB14_1901:
	s_andn2_b32 vcc_lo, exec_lo, s3
	s_cbranch_vccnz .LBB14_1903
; %bb.1902:
	v_cvt_i32_f32_e32 v3, v2
	global_store_short v[0:1], v3, off
.LBB14_1903:
	s_mov_b32 s3, 0
.LBB14_1904:
	s_andn2_b32 vcc_lo, exec_lo, s3
	s_cbranch_vccnz .LBB14_1909
; %bb.1905:
	s_cmp_gt_i32 s0, 0
	s_mov_b32 s0, -1
	s_cbranch_scc0 .LBB14_1907
; %bb.1906:
	v_cvt_i32_f32_e32 v3, v2
	s_mov_b32 s0, 0
	global_store_byte v[0:1], v3, off
.LBB14_1907:
	s_andn2_b32 vcc_lo, exec_lo, s0
	s_cbranch_vccnz .LBB14_1909
; %bb.1908:
	v_trunc_f32_e32 v2, v2
	v_mul_f32_e64 v3, 0x2f800000, |v2|
	v_floor_f32_e32 v3, v3
	v_fma_f32 v3, 0xcf800000, v3, |v2|
	v_ashrrev_i32_e32 v2, 31, v2
	v_cvt_u32_f32_e32 v3, v3
	v_xor_b32_e32 v3, v3, v2
	v_sub_nc_u32_e32 v2, v3, v2
	global_store_byte v[0:1], v2, off
.LBB14_1909:
	s_mov_b32 s6, -1
.LBB14_1910:
	s_andn2_b32 vcc_lo, exec_lo, s6
	s_cbranch_vccnz .LBB14_2106
; %bb.1911:
	v_add_nc_u32_e32 v2, s2, v5
	s_cmp_lt_i32 s1, 11
	v_ashrrev_i32_e32 v1, 31, v2
	v_add_co_u32 v0, vcc_lo, s8, v2
	v_add_co_ci_u32_e64 v1, null, s9, v1, vcc_lo
	s_cbranch_scc1 .LBB14_1989
; %bb.1912:
	s_and_b32 s3, 0xffff, s1
	s_mov_b32 s10, -1
	s_mov_b32 s4, 0
	s_cmp_gt_i32 s3, 25
	s_mov_b32 s6, 0
	s_mov_b32 s0, 0
	s_cbranch_scc0 .LBB14_1945
; %bb.1913:
	s_cmp_gt_i32 s3, 28
	s_cbranch_scc0 .LBB14_1928
; %bb.1914:
	s_cmp_gt_i32 s3, 43
	s_cbranch_scc0 .LBB14_1924
; %bb.1915:
	s_cmp_gt_i32 s3, 45
	s_cbranch_scc0 .LBB14_1918
; %bb.1916:
	s_mov_b32 s0, -1
	s_mov_b32 s10, 0
	s_cmp_eq_u32 s3, 46
	s_cbranch_scc0 .LBB14_1918
; %bb.1917:
	v_bfe_u32 v3, v4, 16, 1
	v_cmp_o_f32_e32 vcc_lo, v4, v4
	v_mov_b32_e32 v5, 0x7fc0
	s_mov_b32 s0, 0
	s_mov_b32 s6, -1
	v_add3_u32 v3, v4, v3, 0x7fff
	v_cndmask_b32_sdwa v3, v5, v3, vcc_lo dst_sel:DWORD dst_unused:UNUSED_PAD src0_sel:DWORD src1_sel:WORD_1
	global_store_dword v[0:1], v3, off
.LBB14_1918:
	s_and_b32 vcc_lo, exec_lo, s10
	s_cbranch_vccz .LBB14_1923
; %bb.1919:
	s_cmp_eq_u32 s3, 44
	s_mov_b32 s0, -1
	s_cbranch_scc0 .LBB14_1923
; %bb.1920:
	v_bfe_u32 v5, v4, 23, 8
	v_mov_b32_e32 v3, 0xff
	s_mov_b32 s6, exec_lo
	v_cmpx_ne_u32_e32 0xff, v5
	s_cbranch_execz .LBB14_1922
; %bb.1921:
	v_and_b32_e32 v3, 0x400000, v4
	v_and_or_b32 v5, 0x3fffff, v4, v5
	v_cmp_ne_u32_e32 vcc_lo, 0, v3
	v_cmp_ne_u32_e64 s0, 0, v5
	v_lshrrev_b32_e32 v3, 23, v4
	s_and_b32 s0, vcc_lo, s0
	v_cndmask_b32_e64 v5, 0, 1, s0
	v_add_nc_u32_e32 v3, v3, v5
.LBB14_1922:
	s_or_b32 exec_lo, exec_lo, s6
	s_mov_b32 s0, 0
	s_mov_b32 s6, -1
	global_store_byte v[0:1], v3, off
.LBB14_1923:
	s_mov_b32 s10, 0
.LBB14_1924:
	s_and_b32 vcc_lo, exec_lo, s10
	s_cbranch_vccz .LBB14_1927
; %bb.1925:
	s_cmp_eq_u32 s3, 29
	s_mov_b32 s0, -1
	s_cbranch_scc0 .LBB14_1927
; %bb.1926:
	v_trunc_f32_e32 v3, v4
	s_mov_b32 s0, 0
	s_mov_b32 s6, -1
	v_mul_f32_e32 v5, 0x2f800000, v3
	v_floor_f32_e32 v5, v5
	v_fmamk_f32 v3, v5, 0xcf800000, v3
	v_cvt_u32_f32_e32 v8, v5
	v_cvt_u32_f32_e32 v7, v3
	global_store_dwordx2 v[0:1], v[7:8], off
.LBB14_1927:
	s_mov_b32 s10, 0
.LBB14_1928:
	s_and_b32 vcc_lo, exec_lo, s10
	s_cbranch_vccz .LBB14_1944
; %bb.1929:
	s_cmp_lt_i32 s3, 27
	s_mov_b32 s6, -1
	s_cbranch_scc1 .LBB14_1935
; %bb.1930:
	v_cvt_u32_f32_e32 v3, v4
	s_cmp_gt_i32 s3, 27
	s_cbranch_scc0 .LBB14_1932
; %bb.1931:
	s_mov_b32 s6, 0
	global_store_dword v[0:1], v3, off
.LBB14_1932:
	s_andn2_b32 vcc_lo, exec_lo, s6
	s_cbranch_vccnz .LBB14_1934
; %bb.1933:
	global_store_short v[0:1], v3, off
.LBB14_1934:
	s_mov_b32 s6, 0
.LBB14_1935:
	s_andn2_b32 vcc_lo, exec_lo, s6
	s_cbranch_vccnz .LBB14_1943
; %bb.1936:
	v_and_b32_e32 v3, 0x7fffffff, v4
	v_mov_b32_e32 v5, 0x80
	s_mov_b32 s6, exec_lo
	v_cmpx_gt_u32_e32 0x43800000, v3
	s_cbranch_execz .LBB14_1942
; %bb.1937:
	v_cmp_lt_u32_e32 vcc_lo, 0x3bffffff, v3
	s_mov_b32 s10, 0
                                        ; implicit-def: $vgpr3
	s_and_saveexec_b32 s11, vcc_lo
	s_xor_b32 s11, exec_lo, s11
	s_cbranch_execz .LBB14_2119
; %bb.1938:
	v_bfe_u32 v3, v4, 20, 1
	s_mov_b32 s10, exec_lo
	v_add3_u32 v3, v4, v3, 0x487ffff
	v_lshrrev_b32_e32 v3, 20, v3
	s_andn2_saveexec_b32 s11, s11
	s_cbranch_execnz .LBB14_2120
.LBB14_1939:
	s_or_b32 exec_lo, exec_lo, s11
	v_mov_b32_e32 v5, 0
	s_and_saveexec_b32 s11, s10
.LBB14_1940:
	v_lshrrev_b32_e32 v5, 24, v4
	v_and_or_b32 v5, 0x80, v5, v3
.LBB14_1941:
	s_or_b32 exec_lo, exec_lo, s11
.LBB14_1942:
	s_or_b32 exec_lo, exec_lo, s6
	global_store_byte v[0:1], v5, off
.LBB14_1943:
	s_mov_b32 s6, -1
.LBB14_1944:
	s_mov_b32 s10, 0
.LBB14_1945:
	s_and_b32 vcc_lo, exec_lo, s10
	s_cbranch_vccz .LBB14_1985
; %bb.1946:
	s_cmp_gt_i32 s3, 22
	s_mov_b32 s4, -1
	s_cbranch_scc0 .LBB14_1978
; %bb.1947:
	s_cmp_lt_i32 s3, 24
	s_cbranch_scc1 .LBB14_1967
; %bb.1948:
	s_cmp_gt_i32 s3, 24
	s_cbranch_scc0 .LBB14_1956
; %bb.1949:
	v_and_b32_e32 v3, 0x7fffffff, v4
	v_mov_b32_e32 v5, 0x80
	s_mov_b32 s4, exec_lo
	v_cmpx_gt_u32_e32 0x47800000, v3
	s_cbranch_execz .LBB14_1955
; %bb.1950:
	v_cmp_lt_u32_e32 vcc_lo, 0x37ffffff, v3
	s_mov_b32 s6, 0
                                        ; implicit-def: $vgpr3
	s_and_saveexec_b32 s10, vcc_lo
	s_xor_b32 s10, exec_lo, s10
	s_cbranch_execz .LBB14_2122
; %bb.1951:
	v_bfe_u32 v3, v4, 21, 1
	s_mov_b32 s6, exec_lo
	v_add3_u32 v3, v4, v3, 0x88fffff
	v_lshrrev_b32_e32 v3, 21, v3
	s_andn2_saveexec_b32 s10, s10
	s_cbranch_execnz .LBB14_2123
.LBB14_1952:
	s_or_b32 exec_lo, exec_lo, s10
	v_mov_b32_e32 v5, 0
	s_and_saveexec_b32 s10, s6
.LBB14_1953:
	v_lshrrev_b32_e32 v5, 24, v4
	v_and_or_b32 v5, 0x80, v5, v3
.LBB14_1954:
	s_or_b32 exec_lo, exec_lo, s10
.LBB14_1955:
	s_or_b32 exec_lo, exec_lo, s4
	s_mov_b32 s4, 0
	global_store_byte v[0:1], v5, off
.LBB14_1956:
	s_and_b32 vcc_lo, exec_lo, s4
	s_cbranch_vccz .LBB14_1966
; %bb.1957:
	v_and_b32_e32 v5, 0x7fffffff, v4
	s_mov_b32 s4, exec_lo
                                        ; implicit-def: $vgpr3
	v_cmpx_gt_u32_e32 0x43f00000, v5
	s_xor_b32 s4, exec_lo, s4
	s_cbranch_execz .LBB14_1963
; %bb.1958:
	s_mov_b32 s6, exec_lo
                                        ; implicit-def: $vgpr3
	v_cmpx_lt_u32_e32 0x3c7fffff, v5
	s_xor_b32 s6, exec_lo, s6
; %bb.1959:
	v_bfe_u32 v3, v4, 20, 1
	v_add3_u32 v3, v4, v3, 0x407ffff
	v_and_b32_e32 v5, 0xff00000, v3
	v_lshrrev_b32_e32 v3, 20, v3
	v_cmp_ne_u32_e32 vcc_lo, 0x7f00000, v5
	v_cndmask_b32_e32 v3, 0x7e, v3, vcc_lo
; %bb.1960:
	s_andn2_saveexec_b32 s6, s6
; %bb.1961:
	v_add_f32_e64 v3, 0x46800000, |v4|
; %bb.1962:
	s_or_b32 exec_lo, exec_lo, s6
                                        ; implicit-def: $vgpr5
.LBB14_1963:
	s_andn2_saveexec_b32 s4, s4
; %bb.1964:
	v_mov_b32_e32 v3, 0x7f
	v_cmp_lt_u32_e32 vcc_lo, 0x7f800000, v5
	v_cndmask_b32_e32 v3, 0x7e, v3, vcc_lo
; %bb.1965:
	s_or_b32 exec_lo, exec_lo, s4
	v_lshrrev_b32_e32 v5, 24, v4
	v_and_or_b32 v3, 0x80, v5, v3
	global_store_byte v[0:1], v3, off
.LBB14_1966:
	s_mov_b32 s4, 0
.LBB14_1967:
	s_andn2_b32 vcc_lo, exec_lo, s4
	s_cbranch_vccnz .LBB14_1977
; %bb.1968:
	v_and_b32_e32 v5, 0x7fffffff, v4
	s_mov_b32 s4, exec_lo
                                        ; implicit-def: $vgpr3
	v_cmpx_gt_u32_e32 0x47800000, v5
	s_xor_b32 s4, exec_lo, s4
	s_cbranch_execz .LBB14_1974
; %bb.1969:
	s_mov_b32 s6, exec_lo
                                        ; implicit-def: $vgpr3
	v_cmpx_lt_u32_e32 0x387fffff, v5
	s_xor_b32 s6, exec_lo, s6
; %bb.1970:
	v_bfe_u32 v3, v4, 21, 1
	v_add3_u32 v3, v4, v3, 0x80fffff
	v_lshrrev_b32_e32 v3, 21, v3
; %bb.1971:
	s_andn2_saveexec_b32 s6, s6
; %bb.1972:
	v_add_f32_e64 v3, 0x43000000, |v4|
; %bb.1973:
	s_or_b32 exec_lo, exec_lo, s6
                                        ; implicit-def: $vgpr5
.LBB14_1974:
	s_andn2_saveexec_b32 s4, s4
; %bb.1975:
	v_mov_b32_e32 v3, 0x7f
	v_cmp_lt_u32_e32 vcc_lo, 0x7f800000, v5
	v_cndmask_b32_e32 v3, 0x7c, v3, vcc_lo
; %bb.1976:
	s_or_b32 exec_lo, exec_lo, s4
	v_lshrrev_b32_e32 v5, 24, v4
	v_and_or_b32 v3, 0x80, v5, v3
	global_store_byte v[0:1], v3, off
.LBB14_1977:
	s_mov_b32 s4, 0
	s_mov_b32 s6, -1
.LBB14_1978:
	s_andn2_b32 vcc_lo, exec_lo, s4
	s_mov_b32 s4, 0
	s_cbranch_vccnz .LBB14_1985
; %bb.1979:
	s_cmp_gt_i32 s3, 14
	s_mov_b32 s4, -1
	s_cbranch_scc0 .LBB14_1983
; %bb.1980:
	s_cmp_eq_u32 s3, 15
	s_mov_b32 s0, -1
	s_cbranch_scc0 .LBB14_1982
; %bb.1981:
	v_bfe_u32 v3, v4, 16, 1
	v_cmp_o_f32_e32 vcc_lo, v4, v4
	v_mov_b32_e32 v5, 0x7fc0
	s_mov_b32 s0, 0
	s_mov_b32 s6, -1
	v_add3_u32 v3, v4, v3, 0x7fff
	v_cndmask_b32_sdwa v3, v5, v3, vcc_lo dst_sel:DWORD dst_unused:UNUSED_PAD src0_sel:DWORD src1_sel:WORD_1
	global_store_short v[0:1], v3, off
.LBB14_1982:
	s_mov_b32 s4, 0
.LBB14_1983:
	s_and_b32 vcc_lo, exec_lo, s4
	s_mov_b32 s4, 0
	s_cbranch_vccz .LBB14_1985
; %bb.1984:
	s_cmp_lg_u32 s3, 11
	s_mov_b32 s4, -1
	s_cselect_b32 s0, -1, 0
.LBB14_1985:
	s_and_b32 vcc_lo, exec_lo, s0
	s_cbranch_vccnz .LBB14_2121
; %bb.1986:
	s_andn2_b32 vcc_lo, exec_lo, s4
	s_cbranch_vccnz .LBB14_1988
.LBB14_1987:
	v_cmp_neq_f32_e32 vcc_lo, 0, v4
	s_mov_b32 s6, -1
	v_cndmask_b32_e64 v3, 0, 1, vcc_lo
	global_store_byte v[0:1], v3, off
.LBB14_1988:
	s_mov_b32 s0, 0
	s_branch .LBB14_1990
.LBB14_1989:
	s_mov_b32 s0, -1
	s_mov_b32 s6, 0
.LBB14_1990:
	s_and_b32 vcc_lo, exec_lo, s0
	s_cbranch_vccz .LBB14_2029
; %bb.1991:
	s_and_b32 s0, 0xffff, s1
	s_mov_b32 s3, -1
	s_cmp_lt_i32 s0, 5
	s_cbranch_scc1 .LBB14_2012
; %bb.1992:
	s_cmp_lt_i32 s0, 8
	s_cbranch_scc1 .LBB14_2002
; %bb.1993:
	;; [unrolled: 3-line block ×3, first 2 shown]
	s_cmp_gt_i32 s0, 9
	s_cbranch_scc0 .LBB14_1996
; %bb.1995:
	v_cvt_f64_f32_e32 v[7:8], v4
	v_mov_b32_e32 v9, 0
	s_mov_b32 s3, 0
	v_mov_b32_e32 v10, v9
	global_store_dwordx4 v[0:1], v[7:10], off
.LBB14_1996:
	s_andn2_b32 vcc_lo, exec_lo, s3
	s_cbranch_vccnz .LBB14_1998
; %bb.1997:
	v_mov_b32_e32 v5, 0
	global_store_dwordx2 v[0:1], v[4:5], off
.LBB14_1998:
	s_mov_b32 s3, 0
.LBB14_1999:
	s_andn2_b32 vcc_lo, exec_lo, s3
	s_cbranch_vccnz .LBB14_2001
; %bb.2000:
	v_cvt_f16_f32_e32 v3, v4
	v_and_b32_e32 v3, 0xffff, v3
	global_store_dword v[0:1], v3, off
.LBB14_2001:
	s_mov_b32 s3, 0
.LBB14_2002:
	s_andn2_b32 vcc_lo, exec_lo, s3
	s_cbranch_vccnz .LBB14_2011
; %bb.2003:
	s_cmp_lt_i32 s0, 6
	s_mov_b32 s3, -1
	s_cbranch_scc1 .LBB14_2009
; %bb.2004:
	s_cmp_gt_i32 s0, 6
	s_cbranch_scc0 .LBB14_2006
; %bb.2005:
	v_cvt_f64_f32_e32 v[7:8], v4
	s_mov_b32 s3, 0
	global_store_dwordx2 v[0:1], v[7:8], off
.LBB14_2006:
	s_andn2_b32 vcc_lo, exec_lo, s3
	s_cbranch_vccnz .LBB14_2008
; %bb.2007:
	global_store_dword v[0:1], v4, off
.LBB14_2008:
	s_mov_b32 s3, 0
.LBB14_2009:
	s_andn2_b32 vcc_lo, exec_lo, s3
	s_cbranch_vccnz .LBB14_2011
; %bb.2010:
	v_cvt_f16_f32_e32 v3, v4
	global_store_short v[0:1], v3, off
.LBB14_2011:
	s_mov_b32 s3, 0
.LBB14_2012:
	s_andn2_b32 vcc_lo, exec_lo, s3
	s_cbranch_vccnz .LBB14_2028
; %bb.2013:
	s_cmp_lt_i32 s0, 2
	s_mov_b32 s3, -1
	s_cbranch_scc1 .LBB14_2023
; %bb.2014:
	s_cmp_lt_i32 s0, 3
	s_cbranch_scc1 .LBB14_2020
; %bb.2015:
	s_cmp_gt_i32 s0, 3
	s_cbranch_scc0 .LBB14_2017
; %bb.2016:
	v_trunc_f32_e32 v3, v4
	s_mov_b32 s3, 0
	v_mul_f32_e64 v5, 0x2f800000, |v3|
	v_floor_f32_e32 v5, v5
	v_fma_f32 v7, 0xcf800000, v5, |v3|
	v_ashrrev_i32_e32 v3, 31, v3
	v_cvt_u32_f32_e32 v5, v5
	v_cvt_u32_f32_e32 v7, v7
	v_xor_b32_e32 v5, v5, v3
	v_xor_b32_e32 v7, v7, v3
	v_sub_co_u32 v7, vcc_lo, v7, v3
	v_sub_co_ci_u32_e64 v8, null, v5, v3, vcc_lo
	global_store_dwordx2 v[0:1], v[7:8], off
.LBB14_2017:
	s_andn2_b32 vcc_lo, exec_lo, s3
	s_cbranch_vccnz .LBB14_2019
; %bb.2018:
	v_cvt_i32_f32_e32 v3, v4
	global_store_dword v[0:1], v3, off
.LBB14_2019:
	s_mov_b32 s3, 0
.LBB14_2020:
	s_andn2_b32 vcc_lo, exec_lo, s3
	s_cbranch_vccnz .LBB14_2022
; %bb.2021:
	v_cvt_i32_f32_e32 v3, v4
	global_store_short v[0:1], v3, off
.LBB14_2022:
	s_mov_b32 s3, 0
.LBB14_2023:
	s_andn2_b32 vcc_lo, exec_lo, s3
	s_cbranch_vccnz .LBB14_2028
; %bb.2024:
	s_cmp_gt_i32 s0, 0
	s_mov_b32 s0, -1
	s_cbranch_scc0 .LBB14_2026
; %bb.2025:
	v_cvt_i32_f32_e32 v3, v4
	s_mov_b32 s0, 0
	global_store_byte v[0:1], v3, off
.LBB14_2026:
	s_andn2_b32 vcc_lo, exec_lo, s0
	s_cbranch_vccnz .LBB14_2028
; %bb.2027:
	v_trunc_f32_e32 v3, v4
	v_mul_f32_e64 v4, 0x2f800000, |v3|
	v_floor_f32_e32 v4, v4
	v_fma_f32 v4, 0xcf800000, v4, |v3|
	v_ashrrev_i32_e32 v3, 31, v3
	v_cvt_u32_f32_e32 v4, v4
	v_xor_b32_e32 v4, v4, v3
	v_sub_nc_u32_e32 v3, v4, v3
	global_store_byte v[0:1], v3, off
.LBB14_2028:
	s_mov_b32 s6, -1
.LBB14_2029:
	s_andn2_b32 vcc_lo, exec_lo, s6
	s_cbranch_vccnz .LBB14_2106
; %bb.2030:
	v_add_nc_u32_e32 v0, s2, v2
	s_cmp_lt_i32 s1, 11
	v_ashrrev_i32_e32 v1, 31, v0
	v_add_co_u32 v0, vcc_lo, s8, v0
	v_add_co_ci_u32_e64 v1, null, s9, v1, vcc_lo
	s_cbranch_scc1 .LBB14_2107
; %bb.2031:
	s_and_b32 s2, 0xffff, s1
	s_mov_b32 s4, -1
	s_mov_b32 s3, 0
	s_cmp_gt_i32 s2, 25
	s_mov_b32 s0, 0
	s_cbranch_scc0 .LBB14_2064
; %bb.2032:
	s_cmp_gt_i32 s2, 28
	s_cbranch_scc0 .LBB14_2048
; %bb.2033:
	s_cmp_gt_i32 s2, 43
	;; [unrolled: 3-line block ×3, first 2 shown]
	s_cbranch_scc0 .LBB14_2038
; %bb.2035:
	s_cmp_eq_u32 s2, 46
	s_mov_b32 s0, -1
	s_cbranch_scc0 .LBB14_2037
; %bb.2036:
	v_bfe_u32 v2, v6, 16, 1
	v_cmp_o_f32_e32 vcc_lo, v6, v6
	v_mov_b32_e32 v3, 0x7fc0
	s_mov_b32 s0, 0
	v_add3_u32 v2, v6, v2, 0x7fff
	v_cndmask_b32_sdwa v2, v3, v2, vcc_lo dst_sel:DWORD dst_unused:UNUSED_PAD src0_sel:DWORD src1_sel:WORD_1
	global_store_dword v[0:1], v2, off
.LBB14_2037:
	s_mov_b32 s4, 0
.LBB14_2038:
	s_and_b32 vcc_lo, exec_lo, s4
	s_cbranch_vccz .LBB14_2043
; %bb.2039:
	s_cmp_eq_u32 s2, 44
	s_mov_b32 s0, -1
	s_cbranch_scc0 .LBB14_2043
; %bb.2040:
	v_bfe_u32 v3, v6, 23, 8
	v_mov_b32_e32 v2, 0xff
	s_mov_b32 s4, exec_lo
	v_cmpx_ne_u32_e32 0xff, v3
	s_cbranch_execz .LBB14_2042
; %bb.2041:
	v_and_b32_e32 v2, 0x400000, v6
	v_and_or_b32 v3, 0x3fffff, v6, v3
	v_cmp_ne_u32_e32 vcc_lo, 0, v2
	v_cmp_ne_u32_e64 s0, 0, v3
	v_lshrrev_b32_e32 v2, 23, v6
	s_and_b32 s0, vcc_lo, s0
	v_cndmask_b32_e64 v3, 0, 1, s0
	v_add_nc_u32_e32 v2, v2, v3
.LBB14_2042:
	s_or_b32 exec_lo, exec_lo, s4
	s_mov_b32 s0, 0
	global_store_byte v[0:1], v2, off
.LBB14_2043:
	s_mov_b32 s4, 0
.LBB14_2044:
	s_and_b32 vcc_lo, exec_lo, s4
	s_cbranch_vccz .LBB14_2047
; %bb.2045:
	s_cmp_eq_u32 s2, 29
	s_mov_b32 s0, -1
	s_cbranch_scc0 .LBB14_2047
; %bb.2046:
	v_trunc_f32_e32 v2, v6
	s_mov_b32 s0, 0
	v_mul_f32_e32 v3, 0x2f800000, v2
	v_floor_f32_e32 v3, v3
	v_fmamk_f32 v2, v3, 0xcf800000, v2
	v_cvt_u32_f32_e32 v3, v3
	v_cvt_u32_f32_e32 v2, v2
	global_store_dwordx2 v[0:1], v[2:3], off
.LBB14_2047:
	s_mov_b32 s4, 0
.LBB14_2048:
	s_and_b32 vcc_lo, exec_lo, s4
	s_cbranch_vccz .LBB14_2063
; %bb.2049:
	s_cmp_lt_i32 s2, 27
	s_mov_b32 s4, -1
	s_cbranch_scc1 .LBB14_2055
; %bb.2050:
	v_cvt_u32_f32_e32 v2, v6
	s_cmp_gt_i32 s2, 27
	s_cbranch_scc0 .LBB14_2052
; %bb.2051:
	s_mov_b32 s4, 0
	global_store_dword v[0:1], v2, off
.LBB14_2052:
	s_andn2_b32 vcc_lo, exec_lo, s4
	s_cbranch_vccnz .LBB14_2054
; %bb.2053:
	global_store_short v[0:1], v2, off
.LBB14_2054:
	s_mov_b32 s4, 0
.LBB14_2055:
	s_andn2_b32 vcc_lo, exec_lo, s4
	s_cbranch_vccnz .LBB14_2063
; %bb.2056:
	v_and_b32_e32 v2, 0x7fffffff, v6
	v_mov_b32_e32 v3, 0x80
	s_mov_b32 s4, exec_lo
	v_cmpx_gt_u32_e32 0x43800000, v2
	s_cbranch_execz .LBB14_2062
; %bb.2057:
	v_cmp_lt_u32_e32 vcc_lo, 0x3bffffff, v2
	s_mov_b32 s6, 0
                                        ; implicit-def: $vgpr2
	s_and_saveexec_b32 s8, vcc_lo
	s_xor_b32 s8, exec_lo, s8
	s_cbranch_execz .LBB14_2124
; %bb.2058:
	v_bfe_u32 v2, v6, 20, 1
	s_mov_b32 s6, exec_lo
	v_add3_u32 v2, v6, v2, 0x487ffff
	v_lshrrev_b32_e32 v2, 20, v2
	s_andn2_saveexec_b32 s8, s8
	s_cbranch_execnz .LBB14_2125
.LBB14_2059:
	s_or_b32 exec_lo, exec_lo, s8
	v_mov_b32_e32 v3, 0
	s_and_saveexec_b32 s8, s6
.LBB14_2060:
	v_lshrrev_b32_e32 v3, 24, v6
	v_and_or_b32 v3, 0x80, v3, v2
.LBB14_2061:
	s_or_b32 exec_lo, exec_lo, s8
.LBB14_2062:
	s_or_b32 exec_lo, exec_lo, s4
	global_store_byte v[0:1], v3, off
.LBB14_2063:
	s_mov_b32 s4, 0
.LBB14_2064:
	s_and_b32 vcc_lo, exec_lo, s4
	s_cbranch_vccz .LBB14_2104
; %bb.2065:
	s_cmp_gt_i32 s2, 22
	s_mov_b32 s3, -1
	s_cbranch_scc0 .LBB14_2097
; %bb.2066:
	s_cmp_lt_i32 s2, 24
	s_cbranch_scc1 .LBB14_2086
; %bb.2067:
	s_cmp_gt_i32 s2, 24
	s_cbranch_scc0 .LBB14_2075
; %bb.2068:
	v_and_b32_e32 v2, 0x7fffffff, v6
	v_mov_b32_e32 v3, 0x80
	s_mov_b32 s3, exec_lo
	v_cmpx_gt_u32_e32 0x47800000, v2
	s_cbranch_execz .LBB14_2074
; %bb.2069:
	v_cmp_lt_u32_e32 vcc_lo, 0x37ffffff, v2
	s_mov_b32 s4, 0
                                        ; implicit-def: $vgpr2
	s_and_saveexec_b32 s6, vcc_lo
	s_xor_b32 s6, exec_lo, s6
	s_cbranch_execz .LBB14_2127
; %bb.2070:
	v_bfe_u32 v2, v6, 21, 1
	s_mov_b32 s4, exec_lo
	v_add3_u32 v2, v6, v2, 0x88fffff
	v_lshrrev_b32_e32 v2, 21, v2
	s_andn2_saveexec_b32 s6, s6
	s_cbranch_execnz .LBB14_2128
.LBB14_2071:
	s_or_b32 exec_lo, exec_lo, s6
	v_mov_b32_e32 v3, 0
	s_and_saveexec_b32 s6, s4
.LBB14_2072:
	v_lshrrev_b32_e32 v3, 24, v6
	v_and_or_b32 v3, 0x80, v3, v2
.LBB14_2073:
	s_or_b32 exec_lo, exec_lo, s6
.LBB14_2074:
	s_or_b32 exec_lo, exec_lo, s3
	s_mov_b32 s3, 0
	global_store_byte v[0:1], v3, off
.LBB14_2075:
	s_and_b32 vcc_lo, exec_lo, s3
	s_cbranch_vccz .LBB14_2085
; %bb.2076:
	v_and_b32_e32 v3, 0x7fffffff, v6
	s_mov_b32 s3, exec_lo
                                        ; implicit-def: $vgpr2
	v_cmpx_gt_u32_e32 0x43f00000, v3
	s_xor_b32 s3, exec_lo, s3
	s_cbranch_execz .LBB14_2082
; %bb.2077:
	s_mov_b32 s4, exec_lo
                                        ; implicit-def: $vgpr2
	v_cmpx_lt_u32_e32 0x3c7fffff, v3
	s_xor_b32 s4, exec_lo, s4
; %bb.2078:
	v_bfe_u32 v2, v6, 20, 1
	v_add3_u32 v2, v6, v2, 0x407ffff
	v_and_b32_e32 v3, 0xff00000, v2
	v_lshrrev_b32_e32 v2, 20, v2
	v_cmp_ne_u32_e32 vcc_lo, 0x7f00000, v3
	v_cndmask_b32_e32 v2, 0x7e, v2, vcc_lo
; %bb.2079:
	s_andn2_saveexec_b32 s4, s4
; %bb.2080:
	v_add_f32_e64 v2, 0x46800000, |v6|
; %bb.2081:
	s_or_b32 exec_lo, exec_lo, s4
                                        ; implicit-def: $vgpr3
.LBB14_2082:
	s_andn2_saveexec_b32 s3, s3
; %bb.2083:
	v_mov_b32_e32 v2, 0x7f
	v_cmp_lt_u32_e32 vcc_lo, 0x7f800000, v3
	v_cndmask_b32_e32 v2, 0x7e, v2, vcc_lo
; %bb.2084:
	s_or_b32 exec_lo, exec_lo, s3
	v_lshrrev_b32_e32 v3, 24, v6
	v_and_or_b32 v2, 0x80, v3, v2
	global_store_byte v[0:1], v2, off
.LBB14_2085:
	s_mov_b32 s3, 0
.LBB14_2086:
	s_andn2_b32 vcc_lo, exec_lo, s3
	s_cbranch_vccnz .LBB14_2096
; %bb.2087:
	v_and_b32_e32 v3, 0x7fffffff, v6
	s_mov_b32 s3, exec_lo
                                        ; implicit-def: $vgpr2
	v_cmpx_gt_u32_e32 0x47800000, v3
	s_xor_b32 s3, exec_lo, s3
	s_cbranch_execz .LBB14_2093
; %bb.2088:
	s_mov_b32 s4, exec_lo
                                        ; implicit-def: $vgpr2
	v_cmpx_lt_u32_e32 0x387fffff, v3
	s_xor_b32 s4, exec_lo, s4
; %bb.2089:
	v_bfe_u32 v2, v6, 21, 1
	v_add3_u32 v2, v6, v2, 0x80fffff
	v_lshrrev_b32_e32 v2, 21, v2
; %bb.2090:
	s_andn2_saveexec_b32 s4, s4
; %bb.2091:
	v_add_f32_e64 v2, 0x43000000, |v6|
; %bb.2092:
	s_or_b32 exec_lo, exec_lo, s4
                                        ; implicit-def: $vgpr3
.LBB14_2093:
	s_andn2_saveexec_b32 s3, s3
; %bb.2094:
	v_mov_b32_e32 v2, 0x7f
	v_cmp_lt_u32_e32 vcc_lo, 0x7f800000, v3
	v_cndmask_b32_e32 v2, 0x7c, v2, vcc_lo
; %bb.2095:
	s_or_b32 exec_lo, exec_lo, s3
	v_lshrrev_b32_e32 v3, 24, v6
	v_and_or_b32 v2, 0x80, v3, v2
	global_store_byte v[0:1], v2, off
.LBB14_2096:
	s_mov_b32 s3, 0
.LBB14_2097:
	s_andn2_b32 vcc_lo, exec_lo, s3
	s_mov_b32 s3, 0
	s_cbranch_vccnz .LBB14_2104
; %bb.2098:
	s_cmp_gt_i32 s2, 14
	s_mov_b32 s3, -1
	s_cbranch_scc0 .LBB14_2102
; %bb.2099:
	s_cmp_eq_u32 s2, 15
	s_mov_b32 s0, -1
	s_cbranch_scc0 .LBB14_2101
; %bb.2100:
	v_bfe_u32 v2, v6, 16, 1
	v_cmp_o_f32_e32 vcc_lo, v6, v6
	v_mov_b32_e32 v3, 0x7fc0
	s_mov_b32 s0, 0
	v_add3_u32 v2, v6, v2, 0x7fff
	v_cndmask_b32_sdwa v2, v3, v2, vcc_lo dst_sel:DWORD dst_unused:UNUSED_PAD src0_sel:DWORD src1_sel:WORD_1
	global_store_short v[0:1], v2, off
.LBB14_2101:
	s_mov_b32 s3, 0
.LBB14_2102:
	s_and_b32 vcc_lo, exec_lo, s3
	s_mov_b32 s3, 0
	s_cbranch_vccz .LBB14_2104
; %bb.2103:
	s_cmp_lg_u32 s2, 11
	s_mov_b32 s3, -1
	s_cselect_b32 s0, -1, 0
.LBB14_2104:
	s_and_b32 vcc_lo, exec_lo, s0
	s_cbranch_vccnz .LBB14_2126
.LBB14_2105:
	s_mov_b32 s0, 0
	s_branch .LBB14_1707
.LBB14_2106:
	s_mov_b32 s0, 0
	s_mov_b32 s3, 0
                                        ; implicit-def: $sgpr1
                                        ; implicit-def: $vgpr0_vgpr1
	s_branch .LBB14_1707
.LBB14_2107:
	s_mov_b32 s3, 0
	s_mov_b32 s0, -1
	s_branch .LBB14_1707
.LBB14_2108:
	s_or_b32 s5, s5, exec_lo
	s_trap 2
	s_cbranch_execz .LBB14_1566
	s_branch .LBB14_1567
.LBB14_2109:
	s_andn2_saveexec_b32 s11, s11
	s_cbranch_execz .LBB14_1656
.LBB14_2110:
	v_add_f32_e64 v1, 0x46000000, |v0|
	s_andn2_b32 s10, s10, exec_lo
	v_and_b32_e32 v1, 0xff, v1
	v_cmp_ne_u32_e32 vcc_lo, 0, v1
	s_and_b32 s13, vcc_lo, exec_lo
	s_or_b32 s10, s10, s13
	s_or_b32 exec_lo, exec_lo, s11
	v_mov_b32_e32 v5, 0
	s_and_saveexec_b32 s11, s10
	s_cbranch_execnz .LBB14_1657
	s_branch .LBB14_1658
.LBB14_2111:
	s_or_b32 s5, s5, exec_lo
	s_trap 2
	s_cbranch_execz .LBB14_1704
	s_branch .LBB14_1705
.LBB14_2112:
	s_andn2_saveexec_b32 s10, s10
	s_cbranch_execz .LBB14_1669
.LBB14_2113:
	v_add_f32_e64 v1, 0x42800000, |v0|
	s_andn2_b32 s6, s6, exec_lo
	v_and_b32_e32 v1, 0xff, v1
	v_cmp_ne_u32_e32 vcc_lo, 0, v1
	s_and_b32 s11, vcc_lo, exec_lo
	s_or_b32 s6, s6, s11
	s_or_b32 exec_lo, exec_lo, s10
	v_mov_b32_e32 v5, 0
	s_and_saveexec_b32 s10, s6
	s_cbranch_execnz .LBB14_1670
	s_branch .LBB14_1671
.LBB14_2114:
	s_andn2_saveexec_b32 s11, s11
	s_cbranch_execz .LBB14_1820
.LBB14_2115:
	v_add_f32_e64 v3, 0x46000000, |v2|
	s_andn2_b32 s10, s10, exec_lo
	v_and_b32_e32 v3, 0xff, v3
	v_cmp_ne_u32_e32 vcc_lo, 0, v3
	s_and_b32 s13, vcc_lo, exec_lo
	s_or_b32 s10, s10, s13
	s_or_b32 exec_lo, exec_lo, s11
	v_mov_b32_e32 v7, 0
	s_and_saveexec_b32 s11, s10
	s_cbranch_execnz .LBB14_1821
	s_branch .LBB14_1822
.LBB14_2116:
	s_or_b32 s5, s5, exec_lo
	s_trap 2
	s_cbranch_execz .LBB14_1868
	s_branch .LBB14_1869
.LBB14_2117:
	s_andn2_saveexec_b32 s10, s10
	s_cbranch_execz .LBB14_1833
.LBB14_2118:
	v_add_f32_e64 v3, 0x42800000, |v2|
	s_andn2_b32 s6, s6, exec_lo
	v_and_b32_e32 v3, 0xff, v3
	v_cmp_ne_u32_e32 vcc_lo, 0, v3
	s_and_b32 s11, vcc_lo, exec_lo
	s_or_b32 s6, s6, s11
	s_or_b32 exec_lo, exec_lo, s10
	v_mov_b32_e32 v7, 0
	s_and_saveexec_b32 s10, s6
	s_cbranch_execnz .LBB14_1834
	s_branch .LBB14_1835
.LBB14_2119:
	s_andn2_saveexec_b32 s11, s11
	s_cbranch_execz .LBB14_1939
.LBB14_2120:
	v_add_f32_e64 v3, 0x46000000, |v4|
	s_andn2_b32 s10, s10, exec_lo
	v_and_b32_e32 v3, 0xff, v3
	v_cmp_ne_u32_e32 vcc_lo, 0, v3
	s_and_b32 s13, vcc_lo, exec_lo
	s_or_b32 s10, s10, s13
	s_or_b32 exec_lo, exec_lo, s11
	v_mov_b32_e32 v5, 0
	s_and_saveexec_b32 s11, s10
	s_cbranch_execnz .LBB14_1940
	s_branch .LBB14_1941
.LBB14_2121:
	s_or_b32 s5, s5, exec_lo
	s_trap 2
	s_cbranch_execz .LBB14_1987
	s_branch .LBB14_1988
.LBB14_2122:
	s_andn2_saveexec_b32 s10, s10
	s_cbranch_execz .LBB14_1952
.LBB14_2123:
	v_add_f32_e64 v3, 0x42800000, |v4|
	s_andn2_b32 s6, s6, exec_lo
	v_and_b32_e32 v3, 0xff, v3
	v_cmp_ne_u32_e32 vcc_lo, 0, v3
	s_and_b32 s11, vcc_lo, exec_lo
	s_or_b32 s6, s6, s11
	s_or_b32 exec_lo, exec_lo, s10
	v_mov_b32_e32 v5, 0
	s_and_saveexec_b32 s10, s6
	s_cbranch_execnz .LBB14_1953
	s_branch .LBB14_1954
.LBB14_2124:
	s_andn2_saveexec_b32 s8, s8
	s_cbranch_execz .LBB14_2059
.LBB14_2125:
	v_add_f32_e64 v2, 0x46000000, |v6|
	s_andn2_b32 s6, s6, exec_lo
	v_and_b32_e32 v2, 0xff, v2
	v_cmp_ne_u32_e32 vcc_lo, 0, v2
	s_and_b32 s9, vcc_lo, exec_lo
	s_or_b32 s6, s6, s9
	s_or_b32 exec_lo, exec_lo, s8
	v_mov_b32_e32 v3, 0
	s_and_saveexec_b32 s8, s6
	s_cbranch_execnz .LBB14_2060
	s_branch .LBB14_2061
.LBB14_2126:
	s_mov_b32 s3, 0
	s_or_b32 s5, s5, exec_lo
	s_trap 2
	s_branch .LBB14_2105
.LBB14_2127:
	s_andn2_saveexec_b32 s6, s6
	s_cbranch_execz .LBB14_2071
.LBB14_2128:
	v_add_f32_e64 v2, 0x42800000, |v6|
	s_andn2_b32 s4, s4, exec_lo
	v_and_b32_e32 v2, 0xff, v2
	v_cmp_ne_u32_e32 vcc_lo, 0, v2
	s_and_b32 s8, vcc_lo, exec_lo
	s_or_b32 s4, s4, s8
	s_or_b32 exec_lo, exec_lo, s6
	v_mov_b32_e32 v3, 0
	s_and_saveexec_b32 s6, s4
	s_cbranch_execnz .LBB14_2072
	s_branch .LBB14_2073
	.section	.rodata,"a",@progbits
	.p2align	6, 0x0
	.amdhsa_kernel _ZN2at6native32elementwise_kernel_manual_unrollILi128ELi4EZNS0_15gpu_kernel_implIZZZNS0_12_GLOBAL__N_131spherical_bessel_j0_kernel_cudaERNS_18TensorIteratorBaseEENKUlvE_clEvENKUlvE0_clEvEUlfE_EEvS5_RKT_EUlibE_EEviT1_
		.amdhsa_group_segment_fixed_size 0
		.amdhsa_private_segment_fixed_size 0
		.amdhsa_kernarg_size 40
		.amdhsa_user_sgpr_count 6
		.amdhsa_user_sgpr_private_segment_buffer 1
		.amdhsa_user_sgpr_dispatch_ptr 0
		.amdhsa_user_sgpr_queue_ptr 0
		.amdhsa_user_sgpr_kernarg_segment_ptr 1
		.amdhsa_user_sgpr_dispatch_id 0
		.amdhsa_user_sgpr_flat_scratch_init 0
		.amdhsa_user_sgpr_private_segment_size 0
		.amdhsa_wavefront_size32 1
		.amdhsa_uses_dynamic_stack 0
		.amdhsa_system_sgpr_private_segment_wavefront_offset 0
		.amdhsa_system_sgpr_workgroup_id_x 1
		.amdhsa_system_sgpr_workgroup_id_y 0
		.amdhsa_system_sgpr_workgroup_id_z 0
		.amdhsa_system_sgpr_workgroup_info 0
		.amdhsa_system_vgpr_workitem_id 0
		.amdhsa_next_free_vgpr 18
		.amdhsa_next_free_sgpr 26
		.amdhsa_reserve_vcc 1
		.amdhsa_reserve_flat_scratch 0
		.amdhsa_float_round_mode_32 0
		.amdhsa_float_round_mode_16_64 0
		.amdhsa_float_denorm_mode_32 3
		.amdhsa_float_denorm_mode_16_64 3
		.amdhsa_dx10_clamp 1
		.amdhsa_ieee_mode 1
		.amdhsa_fp16_overflow 0
		.amdhsa_workgroup_processor_mode 1
		.amdhsa_memory_ordered 1
		.amdhsa_forward_progress 1
		.amdhsa_shared_vgpr_count 0
		.amdhsa_exception_fp_ieee_invalid_op 0
		.amdhsa_exception_fp_denorm_src 0
		.amdhsa_exception_fp_ieee_div_zero 0
		.amdhsa_exception_fp_ieee_overflow 0
		.amdhsa_exception_fp_ieee_underflow 0
		.amdhsa_exception_fp_ieee_inexact 0
		.amdhsa_exception_int_div_zero 0
	.end_amdhsa_kernel
	.section	.text._ZN2at6native32elementwise_kernel_manual_unrollILi128ELi4EZNS0_15gpu_kernel_implIZZZNS0_12_GLOBAL__N_131spherical_bessel_j0_kernel_cudaERNS_18TensorIteratorBaseEENKUlvE_clEvENKUlvE0_clEvEUlfE_EEvS5_RKT_EUlibE_EEviT1_,"axG",@progbits,_ZN2at6native32elementwise_kernel_manual_unrollILi128ELi4EZNS0_15gpu_kernel_implIZZZNS0_12_GLOBAL__N_131spherical_bessel_j0_kernel_cudaERNS_18TensorIteratorBaseEENKUlvE_clEvENKUlvE0_clEvEUlfE_EEvS5_RKT_EUlibE_EEviT1_,comdat
.Lfunc_end14:
	.size	_ZN2at6native32elementwise_kernel_manual_unrollILi128ELi4EZNS0_15gpu_kernel_implIZZZNS0_12_GLOBAL__N_131spherical_bessel_j0_kernel_cudaERNS_18TensorIteratorBaseEENKUlvE_clEvENKUlvE0_clEvEUlfE_EEvS5_RKT_EUlibE_EEviT1_, .Lfunc_end14-_ZN2at6native32elementwise_kernel_manual_unrollILi128ELi4EZNS0_15gpu_kernel_implIZZZNS0_12_GLOBAL__N_131spherical_bessel_j0_kernel_cudaERNS_18TensorIteratorBaseEENKUlvE_clEvENKUlvE0_clEvEUlfE_EEvS5_RKT_EUlibE_EEviT1_
                                        ; -- End function
	.set _ZN2at6native32elementwise_kernel_manual_unrollILi128ELi4EZNS0_15gpu_kernel_implIZZZNS0_12_GLOBAL__N_131spherical_bessel_j0_kernel_cudaERNS_18TensorIteratorBaseEENKUlvE_clEvENKUlvE0_clEvEUlfE_EEvS5_RKT_EUlibE_EEviT1_.num_vgpr, 18
	.set _ZN2at6native32elementwise_kernel_manual_unrollILi128ELi4EZNS0_15gpu_kernel_implIZZZNS0_12_GLOBAL__N_131spherical_bessel_j0_kernel_cudaERNS_18TensorIteratorBaseEENKUlvE_clEvENKUlvE0_clEvEUlfE_EEvS5_RKT_EUlibE_EEviT1_.num_agpr, 0
	.set _ZN2at6native32elementwise_kernel_manual_unrollILi128ELi4EZNS0_15gpu_kernel_implIZZZNS0_12_GLOBAL__N_131spherical_bessel_j0_kernel_cudaERNS_18TensorIteratorBaseEENKUlvE_clEvENKUlvE0_clEvEUlfE_EEvS5_RKT_EUlibE_EEviT1_.numbered_sgpr, 26
	.set _ZN2at6native32elementwise_kernel_manual_unrollILi128ELi4EZNS0_15gpu_kernel_implIZZZNS0_12_GLOBAL__N_131spherical_bessel_j0_kernel_cudaERNS_18TensorIteratorBaseEENKUlvE_clEvENKUlvE0_clEvEUlfE_EEvS5_RKT_EUlibE_EEviT1_.num_named_barrier, 0
	.set _ZN2at6native32elementwise_kernel_manual_unrollILi128ELi4EZNS0_15gpu_kernel_implIZZZNS0_12_GLOBAL__N_131spherical_bessel_j0_kernel_cudaERNS_18TensorIteratorBaseEENKUlvE_clEvENKUlvE0_clEvEUlfE_EEvS5_RKT_EUlibE_EEviT1_.private_seg_size, 0
	.set _ZN2at6native32elementwise_kernel_manual_unrollILi128ELi4EZNS0_15gpu_kernel_implIZZZNS0_12_GLOBAL__N_131spherical_bessel_j0_kernel_cudaERNS_18TensorIteratorBaseEENKUlvE_clEvENKUlvE0_clEvEUlfE_EEvS5_RKT_EUlibE_EEviT1_.uses_vcc, 1
	.set _ZN2at6native32elementwise_kernel_manual_unrollILi128ELi4EZNS0_15gpu_kernel_implIZZZNS0_12_GLOBAL__N_131spherical_bessel_j0_kernel_cudaERNS_18TensorIteratorBaseEENKUlvE_clEvENKUlvE0_clEvEUlfE_EEvS5_RKT_EUlibE_EEviT1_.uses_flat_scratch, 0
	.set _ZN2at6native32elementwise_kernel_manual_unrollILi128ELi4EZNS0_15gpu_kernel_implIZZZNS0_12_GLOBAL__N_131spherical_bessel_j0_kernel_cudaERNS_18TensorIteratorBaseEENKUlvE_clEvENKUlvE0_clEvEUlfE_EEvS5_RKT_EUlibE_EEviT1_.has_dyn_sized_stack, 0
	.set _ZN2at6native32elementwise_kernel_manual_unrollILi128ELi4EZNS0_15gpu_kernel_implIZZZNS0_12_GLOBAL__N_131spherical_bessel_j0_kernel_cudaERNS_18TensorIteratorBaseEENKUlvE_clEvENKUlvE0_clEvEUlfE_EEvS5_RKT_EUlibE_EEviT1_.has_recursion, 0
	.set _ZN2at6native32elementwise_kernel_manual_unrollILi128ELi4EZNS0_15gpu_kernel_implIZZZNS0_12_GLOBAL__N_131spherical_bessel_j0_kernel_cudaERNS_18TensorIteratorBaseEENKUlvE_clEvENKUlvE0_clEvEUlfE_EEvS5_RKT_EUlibE_EEviT1_.has_indirect_call, 0
	.section	.AMDGPU.csdata,"",@progbits
; Kernel info:
; codeLenInByte = 39200
; TotalNumSgprs: 28
; NumVgprs: 18
; ScratchSize: 0
; MemoryBound: 1
; FloatMode: 240
; IeeeMode: 1
; LDSByteSize: 0 bytes/workgroup (compile time only)
; SGPRBlocks: 0
; VGPRBlocks: 2
; NumSGPRsForWavesPerEU: 28
; NumVGPRsForWavesPerEU: 18
; Occupancy: 16
; WaveLimiterHint : 0
; COMPUTE_PGM_RSRC2:SCRATCH_EN: 0
; COMPUTE_PGM_RSRC2:USER_SGPR: 6
; COMPUTE_PGM_RSRC2:TRAP_HANDLER: 0
; COMPUTE_PGM_RSRC2:TGID_X_EN: 1
; COMPUTE_PGM_RSRC2:TGID_Y_EN: 0
; COMPUTE_PGM_RSRC2:TGID_Z_EN: 0
; COMPUTE_PGM_RSRC2:TIDIG_COMP_CNT: 0
	.section	.text._ZN2at6native32elementwise_kernel_manual_unrollILi128ELi4EZNS0_15gpu_kernel_implIZZZNS0_12_GLOBAL__N_131spherical_bessel_j0_kernel_cudaERNS_18TensorIteratorBaseEENKUlvE_clEvENKUlvE0_clEvEUlfE_EEvS5_RKT_EUlibE0_EEviT1_,"axG",@progbits,_ZN2at6native32elementwise_kernel_manual_unrollILi128ELi4EZNS0_15gpu_kernel_implIZZZNS0_12_GLOBAL__N_131spherical_bessel_j0_kernel_cudaERNS_18TensorIteratorBaseEENKUlvE_clEvENKUlvE0_clEvEUlfE_EEvS5_RKT_EUlibE0_EEviT1_,comdat
	.globl	_ZN2at6native32elementwise_kernel_manual_unrollILi128ELi4EZNS0_15gpu_kernel_implIZZZNS0_12_GLOBAL__N_131spherical_bessel_j0_kernel_cudaERNS_18TensorIteratorBaseEENKUlvE_clEvENKUlvE0_clEvEUlfE_EEvS5_RKT_EUlibE0_EEviT1_ ; -- Begin function _ZN2at6native32elementwise_kernel_manual_unrollILi128ELi4EZNS0_15gpu_kernel_implIZZZNS0_12_GLOBAL__N_131spherical_bessel_j0_kernel_cudaERNS_18TensorIteratorBaseEENKUlvE_clEvENKUlvE0_clEvEUlfE_EEvS5_RKT_EUlibE0_EEviT1_
	.p2align	8
	.type	_ZN2at6native32elementwise_kernel_manual_unrollILi128ELi4EZNS0_15gpu_kernel_implIZZZNS0_12_GLOBAL__N_131spherical_bessel_j0_kernel_cudaERNS_18TensorIteratorBaseEENKUlvE_clEvENKUlvE0_clEvEUlfE_EEvS5_RKT_EUlibE0_EEviT1_,@function
_ZN2at6native32elementwise_kernel_manual_unrollILi128ELi4EZNS0_15gpu_kernel_implIZZZNS0_12_GLOBAL__N_131spherical_bessel_j0_kernel_cudaERNS_18TensorIteratorBaseEENKUlvE_clEvENKUlvE0_clEvEUlfE_EEvS5_RKT_EUlibE0_EEviT1_: ; @_ZN2at6native32elementwise_kernel_manual_unrollILi128ELi4EZNS0_15gpu_kernel_implIZZZNS0_12_GLOBAL__N_131spherical_bessel_j0_kernel_cudaERNS_18TensorIteratorBaseEENKUlvE_clEvENKUlvE0_clEvEUlfE_EEvS5_RKT_EUlibE0_EEviT1_
; %bb.0:
	s_clause 0x1
	s_load_dword s24, s[4:5], 0x8
	s_load_dword s33, s[4:5], 0x0
	v_lshl_or_b32 v8, s6, 9, v0
	s_add_u32 s2, s4, 8
	s_addc_u32 s3, s5, 0
	s_mov_b32 s1, -1
	s_mov_b32 s26, 0
	v_or_b32_e32 v15, 0x180, v8
	s_mov_b32 s12, 0
	s_mov_b32 s0, exec_lo
	s_waitcnt lgkmcnt(0)
	s_add_i32 s25, s24, -1
	s_cmp_gt_u32 s25, 1
	s_cselect_b32 s27, -1, 0
	v_cmpx_le_i32_e64 s33, v15
	s_xor_b32 s28, exec_lo, s0
	s_cbranch_execz .LBB15_1129
; %bb.1:
	v_mov_b32_e32 v0, 0
	s_clause 0x3
	s_load_dwordx4 s[16:19], s[2:3], 0x4
	s_load_dwordx2 s[6:7], s[2:3], 0x14
	s_load_dwordx4 s[12:15], s[2:3], 0xc4
	s_load_dwordx4 s[8:11], s[2:3], 0x148
	s_cmp_lg_u32 s24, 0
	s_mov_b32 s39, 0
	s_cselect_b32 s34, -1, 0
	global_load_ushort v0, v0, s[2:3] offset:345
	s_add_u32 s20, s2, 0xc4
	s_addc_u32 s21, s3, 0
	s_min_u32 s35, s25, 15
	s_cmp_gt_u32 s24, 1
	s_mov_b32 s37, 0
	s_cselect_b32 s31, -1, 0
	s_mov_b32 s36, 0
	s_mov_b32 s38, exec_lo
	s_waitcnt vmcnt(0)
	v_readfirstlane_b32 s29, v0
	s_and_b32 s0, 0xffff, s29
	s_lshr_b32 s30, s0, 8
	v_cmpx_gt_i32_e64 s33, v8
	s_cbranch_execz .LBB15_276
; %bb.2:
	s_andn2_b32 vcc_lo, exec_lo, s27
	s_cbranch_vccnz .LBB15_7
; %bb.3:
	s_andn2_b32 vcc_lo, exec_lo, s34
	s_cbranch_vccnz .LBB15_8
; %bb.4:
	s_add_i32 s37, s35, 1
	s_cmp_eq_u32 s25, 2
	s_cbranch_scc1 .LBB15_9
; %bb.5:
	v_mov_b32_e32 v2, 0
	v_mov_b32_e32 v0, 0
	;; [unrolled: 1-line block ×3, first 2 shown]
	s_and_b32 s36, s37, 28
	s_mov_b32 s40, 0
	s_mov_b64 s[0:1], s[2:3]
	s_mov_b64 s[22:23], s[20:21]
.LBB15_6:                               ; =>This Inner Loop Header: Depth=1
	s_clause 0x1
	s_load_dwordx8 s[44:51], s[0:1], 0x4
	s_load_dwordx4 s[60:63], s[0:1], 0x24
	s_load_dwordx8 s[52:59], s[22:23], 0x0
	s_add_u32 s0, s0, 48
	s_addc_u32 s1, s1, 0
	s_add_i32 s40, s40, 4
	s_add_u32 s22, s22, 32
	s_addc_u32 s23, s23, 0
	s_cmp_lg_u32 s36, s40
	s_waitcnt lgkmcnt(0)
	v_mul_hi_u32 v3, s45, v1
	v_add_nc_u32_e32 v3, v1, v3
	v_lshrrev_b32_e32 v3, s46, v3
	v_mul_hi_u32 v4, s48, v3
	v_mul_lo_u32 v6, v3, s44
	v_add_nc_u32_e32 v4, v3, v4
	v_sub_nc_u32_e32 v1, v1, v6
	v_lshrrev_b32_e32 v4, s49, v4
	v_mul_lo_u32 v6, v1, s52
	v_mul_lo_u32 v9, v1, s53
	v_mul_hi_u32 v5, s51, v4
	v_add_nc_u32_e32 v5, v4, v5
	v_lshrrev_b32_e32 v5, s60, v5
	v_mul_hi_u32 v7, s62, v5
	v_mul_lo_u32 v10, v5, s50
	v_add_nc_u32_e32 v1, v5, v7
	v_mul_lo_u32 v7, v4, s47
	v_sub_nc_u32_e32 v4, v4, v10
	v_lshrrev_b32_e32 v1, s63, v1
	v_mul_lo_u32 v10, v4, s56
	v_mul_lo_u32 v4, v4, s57
	v_sub_nc_u32_e32 v3, v3, v7
	v_mul_lo_u32 v11, v1, s61
	v_mul_lo_u32 v7, v3, s54
	;; [unrolled: 1-line block ×3, first 2 shown]
	v_sub_nc_u32_e32 v5, v5, v11
	v_add3_u32 v0, v6, v0, v7
	v_mul_lo_u32 v11, v5, s58
	v_mul_lo_u32 v5, v5, s59
	v_add3_u32 v2, v9, v2, v3
	v_add3_u32 v0, v10, v0, v11
	;; [unrolled: 1-line block ×3, first 2 shown]
	s_cbranch_scc1 .LBB15_6
	s_branch .LBB15_10
.LBB15_7:
                                        ; implicit-def: $vgpr0
                                        ; implicit-def: $vgpr2
	s_branch .LBB15_14
.LBB15_8:
	v_mov_b32_e32 v0, 0
	v_mov_b32_e32 v2, 0
	s_branch .LBB15_13
.LBB15_9:
	v_mov_b32_e32 v0, 0
	v_mov_b32_e32 v2, 0
	;; [unrolled: 1-line block ×3, first 2 shown]
.LBB15_10:
	s_and_b32 s37, s37, 3
	s_cmp_eq_u32 s37, 0
	s_cbranch_scc1 .LBB15_13
; %bb.11:
	s_lshl_b32 s0, s36, 3
	s_mul_i32 s22, s36, 12
	s_add_u32 s0, s2, s0
	s_addc_u32 s1, s3, 0
	s_add_u32 s0, s0, 0xc4
	s_addc_u32 s1, s1, 0
	;; [unrolled: 2-line block ×3, first 2 shown]
	.p2align	6
.LBB15_12:                              ; =>This Inner Loop Header: Depth=1
	s_clause 0x1
	s_load_dwordx2 s[40:41], s[22:23], 0x4
	s_load_dword s36, s[22:23], 0xc
	s_load_dwordx2 s[42:43], s[0:1], 0x0
	s_add_u32 s22, s22, 12
	s_addc_u32 s23, s23, 0
	s_add_u32 s0, s0, 8
	s_addc_u32 s1, s1, 0
	s_add_i32 s37, s37, -1
	s_cmp_lg_u32 s37, 0
	s_waitcnt lgkmcnt(0)
	v_mul_hi_u32 v3, s41, v1
	v_add_nc_u32_e32 v3, v1, v3
	v_lshrrev_b32_e32 v4, s36, v3
	v_mul_lo_u32 v3, v4, s40
	v_sub_nc_u32_e32 v3, v1, v3
	v_mad_u64_u32 v[0:1], null, v3, s42, v[0:1]
	v_mad_u64_u32 v[2:3], null, v3, s43, v[2:3]
	v_mov_b32_e32 v1, v4
	s_cbranch_scc1 .LBB15_12
.LBB15_13:
	s_cbranch_execnz .LBB15_16
.LBB15_14:
	s_waitcnt lgkmcnt(0)
	v_mul_hi_u32 v0, s17, v8
	s_andn2_b32 vcc_lo, exec_lo, s31
	v_add_nc_u32_e32 v0, v8, v0
	v_lshrrev_b32_e32 v1, s18, v0
	v_mul_lo_u32 v0, v1, s16
	v_sub_nc_u32_e32 v2, v8, v0
	v_mul_lo_u32 v0, v2, s12
	v_mul_lo_u32 v2, v2, s13
	s_cbranch_vccnz .LBB15_16
; %bb.15:
	v_mul_hi_u32 v3, s6, v1
	v_add_nc_u32_e32 v3, v1, v3
	v_lshrrev_b32_e32 v3, s7, v3
	v_mul_lo_u32 v3, v3, s19
	v_sub_nc_u32_e32 v3, v1, v3
	v_mad_u64_u32 v[0:1], null, v3, s14, v[0:1]
	v_mad_u64_u32 v[2:3], null, v3, s15, v[2:3]
.LBB15_16:
	s_waitcnt lgkmcnt(0)
	v_add_co_u32 v1, s0, s10, v2
	v_add_co_ci_u32_e64 v2, null, s11, 0, s0
	s_and_b32 s0, 0xffff, s30
	s_cmp_lt_i32 s0, 11
	s_cbranch_scc1 .LBB15_23
; %bb.17:
	s_cmp_gt_i32 s0, 25
	s_cbranch_scc0 .LBB15_42
; %bb.18:
	s_cmp_gt_i32 s0, 28
	s_cbranch_scc0 .LBB15_45
	;; [unrolled: 3-line block ×4, first 2 shown]
; %bb.21:
	s_cmp_eq_u32 s0, 46
	s_mov_b32 s23, 0
	s_cbranch_scc0 .LBB15_51
; %bb.22:
	global_load_dword v3, v[1:2], off
	s_mov_b32 s1, -1
	s_mov_b32 s22, 0
	s_waitcnt vmcnt(0)
	v_lshlrev_b32_e32 v3, 16, v3
	s_branch .LBB15_53
.LBB15_23:
	s_mov_b32 s22, 0
	s_mov_b32 s1, 0
                                        ; implicit-def: $vgpr3
	s_cbranch_execnz .LBB15_226
.LBB15_24:
	s_andn2_b32 vcc_lo, exec_lo, s1
	s_cbranch_vccnz .LBB15_273
.LBB15_25:
	v_mov_b32_e32 v1, 0
	s_mov_b32 s23, exec_lo
	s_waitcnt vmcnt(0)
	v_cmpx_neq_f32_e64 0x7f800000, |v3|
	s_cbranch_execz .LBB15_35
; %bb.26:
                                        ; implicit-def: $vgpr1
	s_mov_b32 s1, exec_lo
	v_cmpx_nlt_f32_e64 |v3|, 0.5
	s_xor_b32 s36, exec_lo, s1
	s_cbranch_execz .LBB15_32
; %bb.27:
	v_and_b32_e32 v1, 0x7fffffff, v3
                                        ; implicit-def: $vgpr4
                                        ; implicit-def: $vgpr2
	s_mov_b32 s1, exec_lo
	v_cmpx_ngt_f32_e64 0x48000000, |v3|
	s_xor_b32 s37, exec_lo, s1
	s_cbranch_execz .LBB15_29
; %bb.28:
	s_mov_b32 s0, 0x7fffff
	v_mov_b32_e32 v6, 0
	v_and_or_b32 v2, v1, s0, 0x800000
	v_lshrrev_b32_e32 v7, 23, v1
	v_mad_u64_u32 v[4:5], null, 0xfe5163ab, v2, 0
	v_add_nc_u32_e32 v7, 0xffffff88, v7
	v_cmp_lt_u32_e32 vcc_lo, 63, v7
	v_mad_u64_u32 v[9:10], null, 0x3c439041, v2, v[5:6]
	v_cndmask_b32_e64 v14, 0, 0xffffffc0, vcc_lo
	v_mov_b32_e32 v5, v10
	v_add_nc_u32_e32 v7, v14, v7
	v_mad_u64_u32 v[10:11], null, 0xdb629599, v2, v[5:6]
	v_cmp_lt_u32_e64 s0, 31, v7
	v_cndmask_b32_e64 v15, 0, 0xffffffe0, s0
	v_mov_b32_e32 v5, v11
	v_cndmask_b32_e32 v4, v10, v4, vcc_lo
	v_add_nc_u32_e32 v7, v15, v7
	v_mad_u64_u32 v[11:12], null, 0xf534ddc0, v2, v[5:6]
	v_cmp_lt_u32_e64 s1, 31, v7
	v_mov_b32_e32 v5, v12
	v_mad_u64_u32 v[12:13], null, 0xfc2757d1, v2, v[5:6]
	v_mov_b32_e32 v5, v13
	v_mad_u64_u32 v[13:14], null, 0x4e441529, v2, v[5:6]
	v_mov_b32_e32 v5, v14
	v_cndmask_b32_e32 v14, v13, v11, vcc_lo
	v_mad_u64_u32 v[5:6], null, 0xa2f9836e, v2, v[5:6]
	v_cndmask_b32_e64 v2, 0, 0xffffffe0, s1
	v_add_nc_u32_e32 v2, v2, v7
	v_cndmask_b32_e32 v5, v5, v12, vcc_lo
	v_cndmask_b32_e32 v6, v6, v13, vcc_lo
	;; [unrolled: 1-line block ×4, first 2 shown]
	v_sub_nc_u32_e32 v11, 32, v2
	v_cndmask_b32_e64 v9, v5, v14, s0
	v_cndmask_b32_e64 v5, v6, v5, s0
	v_cndmask_b32_e64 v6, v14, v12, s0
	v_cndmask_b32_e64 v12, v12, v7, s0
	v_cmp_eq_u32_e32 vcc_lo, 0, v2
	v_cndmask_b32_e64 v4, v7, v4, s0
	v_cndmask_b32_e64 v5, v5, v9, s1
	;; [unrolled: 1-line block ×5, first 2 shown]
	v_alignbit_b32 v13, v5, v9, v11
	v_alignbit_b32 v10, v9, v6, v11
	;; [unrolled: 1-line block ×3, first 2 shown]
	v_cndmask_b32_e32 v2, v13, v5, vcc_lo
	v_cndmask_b32_e32 v5, v10, v9, vcc_lo
	;; [unrolled: 1-line block ×3, first 2 shown]
	v_bfe_u32 v7, v2, 29, 1
	v_alignbit_b32 v9, v2, v5, 30
	v_alignbit_b32 v5, v5, v6, 30
	;; [unrolled: 1-line block ×3, first 2 shown]
	v_sub_nc_u32_e32 v10, 0, v7
	v_xor_b32_e32 v9, v9, v10
	v_xor_b32_e32 v5, v5, v10
	;; [unrolled: 1-line block ×3, first 2 shown]
	v_lshrrev_b32_e32 v10, 29, v2
	v_ffbh_u32_e32 v11, v9
	v_min_u32_e32 v11, 32, v11
	v_sub_nc_u32_e32 v6, 31, v11
	v_lshlrev_b32_e32 v12, 23, v11
	v_alignbit_b32 v9, v9, v5, v6
	v_alignbit_b32 v4, v5, v4, v6
	v_lshlrev_b32_e32 v5, 31, v10
	v_alignbit_b32 v6, v9, v4, 9
	v_or_b32_e32 v10, 0.5, v5
	v_lshrrev_b32_e32 v9, 9, v9
	v_or_b32_e32 v5, 0x33000000, v5
	v_ffbh_u32_e32 v13, v6
	v_sub_nc_u32_e32 v10, v10, v12
	v_min_u32_e32 v12, 32, v13
	v_or_b32_e32 v9, v9, v10
	v_not_b32_e32 v10, v12
	v_mul_f32_e32 v13, 0x3fc90fda, v9
	v_add_lshl_u32 v11, v12, v11, 23
	v_alignbit_b32 v4, v6, v4, v10
	v_fma_f32 v6, 0x3fc90fda, v9, -v13
	v_sub_nc_u32_e32 v5, v5, v11
	v_lshrrev_b32_e32 v4, 9, v4
	v_fmamk_f32 v6, v9, 0x33a22168, v6
	v_or_b32_e32 v4, v5, v4
	v_fmac_f32_e32 v6, 0x3fc90fda, v4
	v_lshrrev_b32_e32 v4, 30, v2
	v_add_f32_e32 v2, v13, v6
	v_add_nc_u32_e32 v4, v7, v4
.LBB15_29:
	s_andn2_saveexec_b32 s0, s37
; %bb.30:
	v_mul_f32_e64 v2, 0x3f22f983, |v3|
	v_rndne_f32_e32 v4, v2
	v_fma_f32 v2, 0xbfc90fda, v4, |v3|
	v_fmamk_f32 v2, v4, 0xb3a22168, v2
	v_fmamk_f32 v2, v4, 0xa7c234c4, v2
	v_cvt_i32_f32_e32 v4, v4
; %bb.31:
	s_or_b32 exec_lo, exec_lo, s0
	v_mul_f32_e32 v5, v2, v2
	s_mov_b32 s0, 0xb94c1982
	s_mov_b32 s1, 0x37d75334
	v_and_b32_e32 v9, 1, v4
	v_lshlrev_b32_e32 v4, 30, v4
	v_fmaak_f32 v6, s0, v5, 0x3c0881c4
	v_fmaak_f32 v7, s1, v5, 0xbab64f3b
	v_xor_b32_e32 v1, v1, v3
	v_cmp_eq_u32_e32 vcc_lo, 0, v9
	v_and_b32_e32 v4, 0x80000000, v4
	v_fmaak_f32 v6, v5, v6, 0xbe2aaa9d
	v_fmaak_f32 v7, v5, v7, 0x3d2aabf7
	v_mul_f32_e32 v6, v5, v6
	v_fmaak_f32 v7, v5, v7, 0xbf000004
	v_fmac_f32_e32 v2, v2, v6
	v_fma_f32 v5, v5, v7, 1.0
	v_cndmask_b32_e32 v2, v5, v2, vcc_lo
	v_cmp_class_f32_e64 vcc_lo, v3, 0x1f8
	v_xor3_b32 v1, v1, v4, v2
	v_cndmask_b32_e32 v1, 0x7fc00000, v1, vcc_lo
	v_div_scale_f32 v2, null, v3, v3, v1
	v_rcp_f32_e32 v4, v2
	v_fma_f32 v5, -v2, v4, 1.0
	v_fmac_f32_e32 v4, v5, v4
	v_div_scale_f32 v5, vcc_lo, v1, v3, v1
	v_mul_f32_e32 v6, v5, v4
	v_fma_f32 v7, -v2, v6, v5
	v_fmac_f32_e32 v6, v7, v4
	v_fma_f32 v2, -v2, v6, v5
	v_div_fmas_f32 v2, v2, v4, v6
	v_div_fixup_f32 v1, v2, v3, v1
                                        ; implicit-def: $vgpr3
.LBB15_32:
	s_andn2_saveexec_b32 s0, s36
	s_cbranch_execz .LBB15_34
; %bb.33:
	v_mul_f32_e32 v1, v3, v3
	s_mov_b32 s1, 0x2f309231
	v_fmaak_f32 v2, s1, v1, 0xb2d7322b
	v_fmaak_f32 v2, v1, v2, 0x3638ef1d
	;; [unrolled: 1-line block ×5, first 2 shown]
	v_fma_f32 v1, v1, v2, 1.0
.LBB15_34:
	s_or_b32 exec_lo, exec_lo, s0
.LBB15_35:
	s_or_b32 exec_lo, exec_lo, s23
	v_add_co_u32 v3, s0, s8, v0
	v_add_co_ci_u32_e64 v4, null, s9, 0, s0
	s_and_b32 s1, s29, 0xff
	s_cmp_lt_i32 s1, 11
	s_cbranch_scc1 .LBB15_43
; %bb.36:
	s_and_b32 s23, 0xffff, s1
	s_cmp_gt_i32 s23, 25
	s_cbranch_scc0 .LBB15_46
; %bb.37:
	s_cmp_gt_i32 s23, 28
	s_cbranch_scc0 .LBB15_48
; %bb.38:
	;; [unrolled: 3-line block ×4, first 2 shown]
	s_mov_b32 s37, 0
	s_mov_b32 s0, -1
	s_cmp_eq_u32 s23, 46
	s_mov_b32 s36, 0
	s_cbranch_scc0 .LBB15_57
; %bb.41:
	v_bfe_u32 v0, v1, 16, 1
	v_cmp_o_f32_e32 vcc_lo, v1, v1
	v_mov_b32_e32 v2, 0x7fc0
	s_mov_b32 s36, -1
	s_mov_b32 s0, 0
	v_add3_u32 v0, v1, v0, 0x7fff
	v_cndmask_b32_sdwa v0, v2, v0, vcc_lo dst_sel:DWORD dst_unused:UNUSED_PAD src0_sel:DWORD src1_sel:WORD_1
	global_store_dword v[3:4], v0, off
	s_branch .LBB15_57
.LBB15_42:
	s_mov_b32 s22, 0
	s_mov_b32 s1, 0
                                        ; implicit-def: $vgpr3
	s_cbranch_execnz .LBB15_191
	s_branch .LBB15_225
.LBB15_43:
	s_mov_b32 s0, 0
	s_mov_b32 s36, 0
	s_cbranch_execnz .LBB15_126
.LBB15_44:
	s_andn2_b32 vcc_lo, exec_lo, s36
	s_cbranch_vccz .LBB15_164
	s_branch .LBB15_274
.LBB15_45:
	s_mov_b32 s23, -1
	s_mov_b32 s22, 0
	s_mov_b32 s1, 0
                                        ; implicit-def: $vgpr3
	s_branch .LBB15_172
.LBB15_46:
	s_mov_b32 s37, -1
	s_mov_b32 s0, 0
	s_mov_b32 s36, 0
	s_branch .LBB15_84
.LBB15_47:
	s_mov_b32 s23, -1
	s_mov_b32 s22, 0
	s_mov_b32 s1, 0
                                        ; implicit-def: $vgpr3
	s_branch .LBB15_167
.LBB15_48:
	s_mov_b32 s37, -1
	s_mov_b32 s0, 0
	s_mov_b32 s36, 0
	s_branch .LBB15_67
.LBB15_49:
	s_mov_b32 s23, -1
	s_mov_b32 s22, 0
	s_branch .LBB15_52
.LBB15_50:
	s_mov_b32 s37, -1
	s_mov_b32 s0, 0
	s_mov_b32 s36, 0
	s_branch .LBB15_63
.LBB15_51:
	s_mov_b32 s22, -1
.LBB15_52:
	s_mov_b32 s1, 0
                                        ; implicit-def: $vgpr3
.LBB15_53:
	s_and_b32 vcc_lo, exec_lo, s23
	s_cbranch_vccz .LBB15_166
; %bb.54:
	s_cmp_eq_u32 s0, 44
	s_cbranch_scc0 .LBB15_165
; %bb.55:
	global_load_ubyte v3, v[1:2], off
	s_mov_b32 s22, 0
	s_mov_b32 s1, -1
	s_waitcnt vmcnt(0)
	v_lshlrev_b32_e32 v4, 23, v3
	v_cmp_ne_u32_e32 vcc_lo, 0xff, v3
	v_cndmask_b32_e32 v4, 0x7f800001, v4, vcc_lo
	v_cmp_ne_u32_e32 vcc_lo, 0, v3
	v_cndmask_b32_e32 v3, 0x400000, v4, vcc_lo
	s_branch .LBB15_166
.LBB15_56:
	s_mov_b32 s37, -1
	s_mov_b32 s0, 0
	s_mov_b32 s36, 0
.LBB15_57:
	s_and_b32 vcc_lo, exec_lo, s37
	s_cbranch_vccz .LBB15_62
; %bb.58:
	s_cmp_eq_u32 s23, 44
	s_mov_b32 s0, -1
	s_cbranch_scc0 .LBB15_62
; %bb.59:
	v_bfe_u32 v2, v1, 23, 8
	v_mov_b32_e32 v0, 0xff
	s_mov_b32 s36, exec_lo
	v_cmpx_ne_u32_e32 0xff, v2
	s_cbranch_execz .LBB15_61
; %bb.60:
	v_and_b32_e32 v0, 0x400000, v1
	v_and_or_b32 v2, 0x3fffff, v1, v2
	v_cmp_ne_u32_e32 vcc_lo, 0, v0
	v_cmp_ne_u32_e64 s0, 0, v2
	v_lshrrev_b32_e32 v0, 23, v1
	s_and_b32 s0, vcc_lo, s0
	v_cndmask_b32_e64 v2, 0, 1, s0
	v_add_nc_u32_e32 v0, v0, v2
.LBB15_61:
	s_or_b32 exec_lo, exec_lo, s36
	s_mov_b32 s36, -1
	s_mov_b32 s0, 0
	global_store_byte v[3:4], v0, off
.LBB15_62:
	s_mov_b32 s37, 0
.LBB15_63:
	s_and_b32 vcc_lo, exec_lo, s37
	s_cbranch_vccz .LBB15_66
; %bb.64:
	s_cmp_eq_u32 s23, 29
	s_mov_b32 s0, -1
	s_cbranch_scc0 .LBB15_66
; %bb.65:
	v_trunc_f32_e32 v0, v1
	s_mov_b32 s36, -1
	s_mov_b32 s0, 0
	s_mov_b32 s37, 0
	v_mul_f32_e32 v2, 0x2f800000, v0
	v_floor_f32_e32 v2, v2
	v_fmamk_f32 v0, v2, 0xcf800000, v0
	v_cvt_u32_f32_e32 v6, v2
	v_cvt_u32_f32_e32 v5, v0
	global_store_dwordx2 v[3:4], v[5:6], off
	s_branch .LBB15_67
.LBB15_66:
	s_mov_b32 s37, 0
.LBB15_67:
	s_and_b32 vcc_lo, exec_lo, s37
	s_cbranch_vccz .LBB15_83
; %bb.68:
	s_cmp_lt_i32 s23, 27
	s_mov_b32 s36, -1
	s_cbranch_scc1 .LBB15_74
; %bb.69:
	v_cvt_u32_f32_e32 v0, v1
	s_cmp_gt_i32 s23, 27
	s_cbranch_scc0 .LBB15_71
; %bb.70:
	s_mov_b32 s36, 0
	global_store_dword v[3:4], v0, off
.LBB15_71:
	s_andn2_b32 vcc_lo, exec_lo, s36
	s_cbranch_vccnz .LBB15_73
; %bb.72:
	global_store_short v[3:4], v0, off
.LBB15_73:
	s_mov_b32 s36, 0
.LBB15_74:
	s_andn2_b32 vcc_lo, exec_lo, s36
	s_cbranch_vccnz .LBB15_82
; %bb.75:
	v_and_b32_e32 v0, 0x7fffffff, v1
	v_mov_b32_e32 v2, 0x80
	s_mov_b32 s36, exec_lo
	v_cmpx_gt_u32_e32 0x43800000, v0
	s_cbranch_execz .LBB15_81
; %bb.76:
	v_cmp_lt_u32_e32 vcc_lo, 0x3bffffff, v0
	s_mov_b32 s37, 0
                                        ; implicit-def: $vgpr0
	s_and_saveexec_b32 s40, vcc_lo
	s_xor_b32 s40, exec_lo, s40
	s_cbranch_execz .LBB15_327
; %bb.77:
	v_bfe_u32 v0, v1, 20, 1
	s_mov_b32 s37, exec_lo
	v_add3_u32 v0, v1, v0, 0x487ffff
	v_lshrrev_b32_e32 v0, 20, v0
	s_andn2_saveexec_b32 s40, s40
	s_cbranch_execnz .LBB15_328
.LBB15_78:
	s_or_b32 exec_lo, exec_lo, s40
	v_mov_b32_e32 v2, 0
	s_and_saveexec_b32 s40, s37
.LBB15_79:
	v_lshrrev_b32_e32 v2, 24, v1
	v_and_or_b32 v2, 0x80, v2, v0
.LBB15_80:
	s_or_b32 exec_lo, exec_lo, s40
.LBB15_81:
	s_or_b32 exec_lo, exec_lo, s36
	global_store_byte v[3:4], v2, off
.LBB15_82:
	s_mov_b32 s36, -1
.LBB15_83:
	s_mov_b32 s37, 0
.LBB15_84:
	s_and_b32 vcc_lo, exec_lo, s37
	s_cbranch_vccz .LBB15_125
; %bb.85:
	s_cmp_gt_i32 s23, 22
	s_mov_b32 s37, -1
	s_cbranch_scc0 .LBB15_117
; %bb.86:
	s_cmp_lt_i32 s23, 24
	s_mov_b32 s36, -1
	s_cbranch_scc1 .LBB15_106
; %bb.87:
	s_cmp_gt_i32 s23, 24
	s_cbranch_scc0 .LBB15_95
; %bb.88:
	v_and_b32_e32 v0, 0x7fffffff, v1
	v_mov_b32_e32 v2, 0x80
	s_mov_b32 s36, exec_lo
	v_cmpx_gt_u32_e32 0x47800000, v0
	s_cbranch_execz .LBB15_94
; %bb.89:
	v_cmp_lt_u32_e32 vcc_lo, 0x37ffffff, v0
	s_mov_b32 s37, 0
                                        ; implicit-def: $vgpr0
	s_and_saveexec_b32 s40, vcc_lo
	s_xor_b32 s40, exec_lo, s40
	s_cbranch_execz .LBB15_331
; %bb.90:
	v_bfe_u32 v0, v1, 21, 1
	s_mov_b32 s37, exec_lo
	v_add3_u32 v0, v1, v0, 0x88fffff
	v_lshrrev_b32_e32 v0, 21, v0
	s_andn2_saveexec_b32 s40, s40
	s_cbranch_execnz .LBB15_332
.LBB15_91:
	s_or_b32 exec_lo, exec_lo, s40
	v_mov_b32_e32 v2, 0
	s_and_saveexec_b32 s40, s37
.LBB15_92:
	v_lshrrev_b32_e32 v2, 24, v1
	v_and_or_b32 v2, 0x80, v2, v0
.LBB15_93:
	s_or_b32 exec_lo, exec_lo, s40
.LBB15_94:
	s_or_b32 exec_lo, exec_lo, s36
	s_mov_b32 s36, 0
	global_store_byte v[3:4], v2, off
.LBB15_95:
	s_and_b32 vcc_lo, exec_lo, s36
	s_cbranch_vccz .LBB15_105
; %bb.96:
	v_and_b32_e32 v2, 0x7fffffff, v1
	s_mov_b32 s36, exec_lo
                                        ; implicit-def: $vgpr0
	v_cmpx_gt_u32_e32 0x43f00000, v2
	s_xor_b32 s36, exec_lo, s36
	s_cbranch_execz .LBB15_102
; %bb.97:
	s_mov_b32 s37, exec_lo
                                        ; implicit-def: $vgpr0
	v_cmpx_lt_u32_e32 0x3c7fffff, v2
	s_xor_b32 s37, exec_lo, s37
; %bb.98:
	v_bfe_u32 v0, v1, 20, 1
	v_add3_u32 v0, v1, v0, 0x407ffff
	v_and_b32_e32 v2, 0xff00000, v0
	v_lshrrev_b32_e32 v0, 20, v0
	v_cmp_ne_u32_e32 vcc_lo, 0x7f00000, v2
	v_cndmask_b32_e32 v0, 0x7e, v0, vcc_lo
; %bb.99:
	s_andn2_saveexec_b32 s37, s37
; %bb.100:
	v_add_f32_e64 v0, 0x46800000, |v1|
; %bb.101:
	s_or_b32 exec_lo, exec_lo, s37
                                        ; implicit-def: $vgpr2
.LBB15_102:
	s_andn2_saveexec_b32 s36, s36
; %bb.103:
	v_mov_b32_e32 v0, 0x7f
	v_cmp_lt_u32_e32 vcc_lo, 0x7f800000, v2
	v_cndmask_b32_e32 v0, 0x7e, v0, vcc_lo
; %bb.104:
	s_or_b32 exec_lo, exec_lo, s36
	v_lshrrev_b32_e32 v2, 24, v1
	v_and_or_b32 v0, 0x80, v2, v0
	global_store_byte v[3:4], v0, off
.LBB15_105:
	s_mov_b32 s36, 0
.LBB15_106:
	s_andn2_b32 vcc_lo, exec_lo, s36
	s_cbranch_vccnz .LBB15_116
; %bb.107:
	v_and_b32_e32 v2, 0x7fffffff, v1
	s_mov_b32 s36, exec_lo
                                        ; implicit-def: $vgpr0
	v_cmpx_gt_u32_e32 0x47800000, v2
	s_xor_b32 s36, exec_lo, s36
	s_cbranch_execz .LBB15_113
; %bb.108:
	s_mov_b32 s37, exec_lo
                                        ; implicit-def: $vgpr0
	v_cmpx_lt_u32_e32 0x387fffff, v2
	s_xor_b32 s37, exec_lo, s37
; %bb.109:
	v_bfe_u32 v0, v1, 21, 1
	v_add3_u32 v0, v1, v0, 0x80fffff
	v_lshrrev_b32_e32 v0, 21, v0
; %bb.110:
	s_andn2_saveexec_b32 s37, s37
; %bb.111:
	v_add_f32_e64 v0, 0x43000000, |v1|
; %bb.112:
	s_or_b32 exec_lo, exec_lo, s37
                                        ; implicit-def: $vgpr2
.LBB15_113:
	s_andn2_saveexec_b32 s36, s36
; %bb.114:
	v_mov_b32_e32 v0, 0x7f
	v_cmp_lt_u32_e32 vcc_lo, 0x7f800000, v2
	v_cndmask_b32_e32 v0, 0x7c, v0, vcc_lo
; %bb.115:
	s_or_b32 exec_lo, exec_lo, s36
	v_lshrrev_b32_e32 v2, 24, v1
	v_and_or_b32 v0, 0x80, v2, v0
	global_store_byte v[3:4], v0, off
.LBB15_116:
	s_mov_b32 s37, 0
	s_mov_b32 s36, -1
.LBB15_117:
	s_andn2_b32 vcc_lo, exec_lo, s37
	s_cbranch_vccnz .LBB15_125
; %bb.118:
	s_cmp_gt_i32 s23, 14
	s_mov_b32 s37, -1
	s_cbranch_scc0 .LBB15_122
; %bb.119:
	s_cmp_eq_u32 s23, 15
	s_mov_b32 s0, -1
	s_cbranch_scc0 .LBB15_121
; %bb.120:
	v_bfe_u32 v0, v1, 16, 1
	v_cmp_o_f32_e32 vcc_lo, v1, v1
	v_mov_b32_e32 v2, 0x7fc0
	s_mov_b32 s36, -1
	s_mov_b32 s0, 0
	v_add3_u32 v0, v1, v0, 0x7fff
	v_cndmask_b32_sdwa v0, v2, v0, vcc_lo dst_sel:DWORD dst_unused:UNUSED_PAD src0_sel:DWORD src1_sel:WORD_1
	global_store_short v[3:4], v0, off
.LBB15_121:
	s_mov_b32 s37, 0
.LBB15_122:
	s_and_b32 vcc_lo, exec_lo, s37
	s_cbranch_vccz .LBB15_125
; %bb.123:
	s_cmp_eq_u32 s23, 11
	s_mov_b32 s0, -1
	s_cbranch_scc0 .LBB15_125
; %bb.124:
	v_cmp_neq_f32_e32 vcc_lo, 0, v1
	s_mov_b32 s0, 0
	s_mov_b32 s36, -1
	v_cndmask_b32_e64 v0, 0, 1, vcc_lo
	global_store_byte v[3:4], v0, off
.LBB15_125:
	s_branch .LBB15_44
.LBB15_126:
	s_and_b32 s1, 0xffff, s1
	s_mov_b32 s23, -1
	s_cmp_lt_i32 s1, 5
	s_cbranch_scc1 .LBB15_147
; %bb.127:
	s_cmp_lt_i32 s1, 8
	s_cbranch_scc1 .LBB15_137
; %bb.128:
	;; [unrolled: 3-line block ×3, first 2 shown]
	s_cmp_gt_i32 s1, 9
	s_cbranch_scc0 .LBB15_131
; %bb.130:
	v_cvt_f64_f32_e32 v[9:10], v1
	v_mov_b32_e32 v11, 0
	s_mov_b32 s23, 0
	v_mov_b32_e32 v12, v11
	global_store_dwordx4 v[3:4], v[9:12], off
.LBB15_131:
	s_andn2_b32 vcc_lo, exec_lo, s23
	s_cbranch_vccnz .LBB15_133
; %bb.132:
	v_mov_b32_e32 v2, 0
	global_store_dwordx2 v[3:4], v[1:2], off
.LBB15_133:
	s_mov_b32 s23, 0
.LBB15_134:
	s_andn2_b32 vcc_lo, exec_lo, s23
	s_cbranch_vccnz .LBB15_136
; %bb.135:
	v_cvt_f16_f32_e32 v0, v1
	v_and_b32_e32 v0, 0xffff, v0
	global_store_dword v[3:4], v0, off
.LBB15_136:
	s_mov_b32 s23, 0
.LBB15_137:
	s_andn2_b32 vcc_lo, exec_lo, s23
	s_cbranch_vccnz .LBB15_146
; %bb.138:
	s_cmp_lt_i32 s1, 6
	s_mov_b32 s23, -1
	s_cbranch_scc1 .LBB15_144
; %bb.139:
	s_cmp_gt_i32 s1, 6
	s_cbranch_scc0 .LBB15_141
; %bb.140:
	v_cvt_f64_f32_e32 v[5:6], v1
	s_mov_b32 s23, 0
	global_store_dwordx2 v[3:4], v[5:6], off
.LBB15_141:
	s_andn2_b32 vcc_lo, exec_lo, s23
	s_cbranch_vccnz .LBB15_143
; %bb.142:
	global_store_dword v[3:4], v1, off
.LBB15_143:
	s_mov_b32 s23, 0
.LBB15_144:
	s_andn2_b32 vcc_lo, exec_lo, s23
	s_cbranch_vccnz .LBB15_146
; %bb.145:
	v_cvt_f16_f32_e32 v0, v1
	global_store_short v[3:4], v0, off
.LBB15_146:
	s_mov_b32 s23, 0
.LBB15_147:
	s_andn2_b32 vcc_lo, exec_lo, s23
	s_cbranch_vccnz .LBB15_163
; %bb.148:
	s_cmp_lt_i32 s1, 2
	s_mov_b32 s23, -1
	s_cbranch_scc1 .LBB15_158
; %bb.149:
	s_cmp_lt_i32 s1, 3
	s_cbranch_scc1 .LBB15_155
; %bb.150:
	s_cmp_gt_i32 s1, 3
	s_cbranch_scc0 .LBB15_152
; %bb.151:
	v_trunc_f32_e32 v0, v1
	s_mov_b32 s23, 0
	v_mul_f32_e64 v2, 0x2f800000, |v0|
	v_floor_f32_e32 v2, v2
	v_fma_f32 v5, 0xcf800000, v2, |v0|
	v_ashrrev_i32_e32 v0, 31, v0
	v_cvt_u32_f32_e32 v2, v2
	v_cvt_u32_f32_e32 v5, v5
	v_xor_b32_e32 v2, v2, v0
	v_xor_b32_e32 v5, v5, v0
	v_sub_co_u32 v5, vcc_lo, v5, v0
	v_sub_co_ci_u32_e64 v6, null, v2, v0, vcc_lo
	global_store_dwordx2 v[3:4], v[5:6], off
.LBB15_152:
	s_andn2_b32 vcc_lo, exec_lo, s23
	s_cbranch_vccnz .LBB15_154
; %bb.153:
	v_cvt_i32_f32_e32 v0, v1
	global_store_dword v[3:4], v0, off
.LBB15_154:
	s_mov_b32 s23, 0
.LBB15_155:
	s_andn2_b32 vcc_lo, exec_lo, s23
	s_cbranch_vccnz .LBB15_157
; %bb.156:
	v_cvt_i32_f32_e32 v0, v1
	global_store_short v[3:4], v0, off
.LBB15_157:
	s_mov_b32 s23, 0
.LBB15_158:
	s_andn2_b32 vcc_lo, exec_lo, s23
	s_cbranch_vccnz .LBB15_163
; %bb.159:
	s_cmp_gt_i32 s1, 0
	s_mov_b32 s1, -1
	s_cbranch_scc0 .LBB15_161
; %bb.160:
	v_cvt_i32_f32_e32 v0, v1
	s_mov_b32 s1, 0
	global_store_byte v[3:4], v0, off
.LBB15_161:
	s_andn2_b32 vcc_lo, exec_lo, s1
	s_cbranch_vccnz .LBB15_163
; %bb.162:
	v_trunc_f32_e32 v0, v1
	v_mul_f32_e64 v1, 0x2f800000, |v0|
	v_floor_f32_e32 v1, v1
	v_fma_f32 v1, 0xcf800000, v1, |v0|
	v_ashrrev_i32_e32 v0, 31, v0
	v_cvt_u32_f32_e32 v1, v1
	v_xor_b32_e32 v1, v1, v0
	v_sub_nc_u32_e32 v0, v1, v0
	global_store_byte v[3:4], v0, off
.LBB15_163:
.LBB15_164:
	v_add_nc_u32_e32 v8, 0x80, v8
	s_mov_b32 s1, -1
	s_branch .LBB15_275
.LBB15_165:
	s_mov_b32 s22, -1
                                        ; implicit-def: $vgpr3
.LBB15_166:
	s_mov_b32 s23, 0
.LBB15_167:
	s_and_b32 vcc_lo, exec_lo, s23
	s_cbranch_vccz .LBB15_171
; %bb.168:
	s_cmp_eq_u32 s0, 29
	s_cbranch_scc0 .LBB15_170
; %bb.169:
	global_load_dwordx2 v[3:4], v[1:2], off
	s_mov_b32 s1, -1
	s_mov_b32 s22, 0
	s_mov_b32 s23, 0
	s_waitcnt vmcnt(0)
	v_ffbh_u32_e32 v5, v4
	v_min_u32_e32 v5, 32, v5
	v_lshlrev_b64 v[3:4], v5, v[3:4]
	v_min_u32_e32 v3, 1, v3
	v_or_b32_e32 v3, v4, v3
	v_sub_nc_u32_e32 v4, 32, v5
	v_cvt_f32_u32_e32 v3, v3
	v_ldexp_f32 v3, v3, v4
	s_branch .LBB15_172
.LBB15_170:
	s_mov_b32 s22, -1
                                        ; implicit-def: $vgpr3
.LBB15_171:
	s_mov_b32 s23, 0
.LBB15_172:
	s_and_b32 vcc_lo, exec_lo, s23
	s_cbranch_vccz .LBB15_190
; %bb.173:
	s_cmp_lt_i32 s0, 27
	s_cbranch_scc1 .LBB15_176
; %bb.174:
	s_cmp_gt_i32 s0, 27
	s_cbranch_scc0 .LBB15_177
; %bb.175:
	global_load_dword v3, v[1:2], off
	s_mov_b32 s1, 0
	s_waitcnt vmcnt(0)
	v_cvt_f32_u32_e32 v3, v3
	s_branch .LBB15_178
.LBB15_176:
	s_mov_b32 s1, -1
                                        ; implicit-def: $vgpr3
	s_branch .LBB15_181
.LBB15_177:
	s_mov_b32 s1, -1
                                        ; implicit-def: $vgpr3
.LBB15_178:
	s_andn2_b32 vcc_lo, exec_lo, s1
	s_cbranch_vccnz .LBB15_180
; %bb.179:
	global_load_ushort v3, v[1:2], off
	s_waitcnt vmcnt(0)
	v_cvt_f32_u32_e32 v3, v3
.LBB15_180:
	s_mov_b32 s1, 0
.LBB15_181:
	s_andn2_b32 vcc_lo, exec_lo, s1
	s_cbranch_vccnz .LBB15_189
; %bb.182:
	global_load_ubyte v4, v[1:2], off
	s_mov_b32 s1, 0
	s_mov_b32 s23, exec_lo
	s_waitcnt vmcnt(0)
	v_cmpx_lt_i16_e32 0x7f, v4
	s_xor_b32 s23, exec_lo, s23
	s_cbranch_execz .LBB15_202
; %bb.183:
	s_mov_b32 s1, -1
	s_mov_b32 s36, exec_lo
	v_cmpx_eq_u16_e32 0x80, v4
; %bb.184:
	s_xor_b32 s1, exec_lo, -1
; %bb.185:
	s_or_b32 exec_lo, exec_lo, s36
	s_and_b32 s1, s1, exec_lo
	s_or_saveexec_b32 s23, s23
	v_mov_b32_e32 v3, 0x7f800001
	s_xor_b32 exec_lo, exec_lo, s23
	s_cbranch_execnz .LBB15_203
.LBB15_186:
	s_or_b32 exec_lo, exec_lo, s23
	s_and_saveexec_b32 s23, s1
	s_cbranch_execz .LBB15_188
.LBB15_187:
	v_and_b32_e32 v3, 0xffff, v4
	v_lshlrev_b32_e32 v4, 24, v4
	v_and_b32_e32 v5, 7, v3
	v_bfe_u32 v9, v3, 3, 4
	v_and_b32_e32 v4, 0x80000000, v4
	v_ffbh_u32_e32 v6, v5
	v_cmp_eq_u32_e32 vcc_lo, 0, v9
	v_min_u32_e32 v6, 32, v6
	v_subrev_nc_u32_e32 v7, 28, v6
	v_sub_nc_u32_e32 v6, 29, v6
	v_lshlrev_b32_e32 v3, v7, v3
	v_cndmask_b32_e32 v6, v9, v6, vcc_lo
	v_and_b32_e32 v3, 7, v3
	v_cndmask_b32_e32 v3, v5, v3, vcc_lo
	v_lshl_add_u32 v5, v6, 23, 0x3b800000
	v_lshlrev_b32_e32 v3, 20, v3
	v_or3_b32 v3, v4, v5, v3
.LBB15_188:
	s_or_b32 exec_lo, exec_lo, s23
.LBB15_189:
	s_mov_b32 s1, -1
.LBB15_190:
	s_branch .LBB15_225
.LBB15_191:
	s_cmp_gt_i32 s0, 22
	s_cbranch_scc0 .LBB15_201
; %bb.192:
	s_cmp_lt_i32 s0, 24
	s_cbranch_scc1 .LBB15_204
; %bb.193:
	s_cmp_gt_i32 s0, 24
	s_cbranch_scc0 .LBB15_205
; %bb.194:
	global_load_ubyte v4, v[1:2], off
	s_mov_b32 s1, 0
	s_mov_b32 s23, exec_lo
	s_waitcnt vmcnt(0)
	v_cmpx_lt_i16_e32 0x7f, v4
	s_xor_b32 s23, exec_lo, s23
	s_cbranch_execz .LBB15_217
; %bb.195:
	s_mov_b32 s1, -1
	s_mov_b32 s36, exec_lo
	v_cmpx_eq_u16_e32 0x80, v4
; %bb.196:
	s_xor_b32 s1, exec_lo, -1
; %bb.197:
	s_or_b32 exec_lo, exec_lo, s36
	s_and_b32 s1, s1, exec_lo
	s_or_saveexec_b32 s23, s23
	v_mov_b32_e32 v3, 0x7f800001
	s_xor_b32 exec_lo, exec_lo, s23
	s_cbranch_execnz .LBB15_218
.LBB15_198:
	s_or_b32 exec_lo, exec_lo, s23
	s_and_saveexec_b32 s23, s1
	s_cbranch_execz .LBB15_200
.LBB15_199:
	v_and_b32_e32 v3, 0xffff, v4
	v_lshlrev_b32_e32 v4, 24, v4
	v_and_b32_e32 v5, 3, v3
	v_bfe_u32 v9, v3, 2, 5
	v_and_b32_e32 v4, 0x80000000, v4
	v_ffbh_u32_e32 v6, v5
	v_cmp_eq_u32_e32 vcc_lo, 0, v9
	v_min_u32_e32 v6, 32, v6
	v_subrev_nc_u32_e32 v7, 29, v6
	v_sub_nc_u32_e32 v6, 30, v6
	v_lshlrev_b32_e32 v3, v7, v3
	v_cndmask_b32_e32 v6, v9, v6, vcc_lo
	v_and_b32_e32 v3, 3, v3
	v_cndmask_b32_e32 v3, v5, v3, vcc_lo
	v_lshl_add_u32 v5, v6, 23, 0x37800000
	v_lshlrev_b32_e32 v3, 21, v3
	v_or3_b32 v3, v4, v5, v3
.LBB15_200:
	s_or_b32 exec_lo, exec_lo, s23
	s_mov_b32 s1, 0
	s_branch .LBB15_206
.LBB15_201:
	s_mov_b32 s23, -1
                                        ; implicit-def: $vgpr3
	s_branch .LBB15_212
.LBB15_202:
	s_or_saveexec_b32 s23, s23
	v_mov_b32_e32 v3, 0x7f800001
	s_xor_b32 exec_lo, exec_lo, s23
	s_cbranch_execz .LBB15_186
.LBB15_203:
	v_cmp_ne_u16_e32 vcc_lo, 0, v4
	v_mov_b32_e32 v3, 0
	s_andn2_b32 s1, s1, exec_lo
	s_and_b32 s36, vcc_lo, exec_lo
	s_or_b32 s1, s1, s36
	s_or_b32 exec_lo, exec_lo, s23
	s_and_saveexec_b32 s23, s1
	s_cbranch_execnz .LBB15_187
	s_branch .LBB15_188
.LBB15_204:
	s_mov_b32 s1, -1
                                        ; implicit-def: $vgpr3
	s_branch .LBB15_209
.LBB15_205:
	s_mov_b32 s1, -1
                                        ; implicit-def: $vgpr3
.LBB15_206:
	s_and_b32 vcc_lo, exec_lo, s1
	s_cbranch_vccz .LBB15_208
; %bb.207:
	global_load_ubyte v3, v[1:2], off
	s_waitcnt vmcnt(0)
	v_lshlrev_b32_e32 v3, 24, v3
	v_and_b32_e32 v4, 0x7f000000, v3
	v_ffbh_u32_e32 v5, v4
	v_add_nc_u32_e32 v7, 0x1000000, v4
	v_cmp_ne_u32_e32 vcc_lo, 0, v4
	v_min_u32_e32 v5, 32, v5
	v_sub_nc_u32_e64 v5, v5, 4 clamp
	v_lshlrev_b32_e32 v6, v5, v4
	v_lshlrev_b32_e32 v5, 23, v5
	v_lshrrev_b32_e32 v6, 4, v6
	v_sub_nc_u32_e32 v5, v6, v5
	v_ashrrev_i32_e32 v6, 8, v7
	v_add_nc_u32_e32 v5, 0x3c000000, v5
	v_and_or_b32 v5, 0x7f800000, v6, v5
	v_cndmask_b32_e32 v4, 0, v5, vcc_lo
	v_and_or_b32 v3, 0x80000000, v3, v4
.LBB15_208:
	s_mov_b32 s1, 0
.LBB15_209:
	s_andn2_b32 vcc_lo, exec_lo, s1
	s_cbranch_vccnz .LBB15_211
; %bb.210:
	global_load_ubyte v3, v[1:2], off
	s_waitcnt vmcnt(0)
	v_lshlrev_b32_e32 v4, 25, v3
	v_lshlrev_b16 v3, 8, v3
	v_lshrrev_b32_e32 v5, 4, v4
	v_and_or_b32 v6, 0x7f00, v3, 0.5
	v_cmp_gt_u32_e32 vcc_lo, 0x8000000, v4
	v_bfe_i32 v3, v3, 0, 16
	v_or_b32_e32 v5, 0x70000000, v5
	v_add_f32_e32 v6, -0.5, v6
	v_mul_f32_e32 v5, 0x7800000, v5
	v_cndmask_b32_e32 v4, v5, v6, vcc_lo
	v_and_or_b32 v3, 0x80000000, v3, v4
.LBB15_211:
	s_mov_b32 s23, 0
	s_mov_b32 s1, -1
.LBB15_212:
	s_andn2_b32 vcc_lo, exec_lo, s23
	s_cbranch_vccnz .LBB15_225
; %bb.213:
	s_cmp_gt_i32 s0, 14
	s_cbranch_scc0 .LBB15_216
; %bb.214:
	s_cmp_eq_u32 s0, 15
	s_cbranch_scc0 .LBB15_219
; %bb.215:
	global_load_ushort v3, v[1:2], off
	s_mov_b32 s1, -1
	s_mov_b32 s22, 0
	s_waitcnt vmcnt(0)
	v_lshlrev_b32_e32 v3, 16, v3
	s_branch .LBB15_220
.LBB15_216:
	s_mov_b32 s23, -1
                                        ; implicit-def: $vgpr3
	s_branch .LBB15_221
.LBB15_217:
	s_or_saveexec_b32 s23, s23
	v_mov_b32_e32 v3, 0x7f800001
	s_xor_b32 exec_lo, exec_lo, s23
	s_cbranch_execz .LBB15_198
.LBB15_218:
	v_cmp_ne_u16_e32 vcc_lo, 0, v4
	v_mov_b32_e32 v3, 0
	s_andn2_b32 s1, s1, exec_lo
	s_and_b32 s36, vcc_lo, exec_lo
	s_or_b32 s1, s1, s36
	s_or_b32 exec_lo, exec_lo, s23
	s_and_saveexec_b32 s23, s1
	s_cbranch_execnz .LBB15_199
	s_branch .LBB15_200
.LBB15_219:
	s_mov_b32 s22, -1
                                        ; implicit-def: $vgpr3
.LBB15_220:
	s_mov_b32 s23, 0
.LBB15_221:
	s_and_b32 vcc_lo, exec_lo, s23
	s_cbranch_vccz .LBB15_225
; %bb.222:
	s_cmp_eq_u32 s0, 11
	s_cbranch_scc0 .LBB15_224
; %bb.223:
	global_load_ubyte v3, v[1:2], off
	s_mov_b32 s22, 0
	s_mov_b32 s1, -1
	s_waitcnt vmcnt(0)
	v_cmp_ne_u16_e32 vcc_lo, 0, v3
	v_cndmask_b32_e64 v3, 0, 1.0, vcc_lo
	s_branch .LBB15_225
.LBB15_224:
	s_mov_b32 s22, -1
                                        ; implicit-def: $vgpr3
.LBB15_225:
	s_branch .LBB15_24
.LBB15_226:
	s_cmp_lt_i32 s0, 5
	s_cbranch_scc1 .LBB15_231
; %bb.227:
	s_cmp_lt_i32 s0, 8
	s_cbranch_scc1 .LBB15_232
; %bb.228:
	;; [unrolled: 3-line block ×3, first 2 shown]
	s_cmp_gt_i32 s0, 9
	s_cbranch_scc0 .LBB15_234
; %bb.230:
	global_load_dwordx2 v[3:4], v[1:2], off
	s_mov_b32 s1, 0
	s_waitcnt vmcnt(0)
	v_cvt_f32_f64_e32 v3, v[3:4]
	s_branch .LBB15_235
.LBB15_231:
                                        ; implicit-def: $vgpr3
	s_branch .LBB15_253
.LBB15_232:
	s_mov_b32 s1, -1
                                        ; implicit-def: $vgpr3
	s_branch .LBB15_241
.LBB15_233:
	s_mov_b32 s1, -1
                                        ; implicit-def: $vgpr3
	s_branch .LBB15_238
.LBB15_234:
	s_mov_b32 s1, -1
                                        ; implicit-def: $vgpr3
.LBB15_235:
	s_andn2_b32 vcc_lo, exec_lo, s1
	s_cbranch_vccnz .LBB15_237
; %bb.236:
	global_load_dword v3, v[1:2], off
.LBB15_237:
	s_mov_b32 s1, 0
.LBB15_238:
	s_andn2_b32 vcc_lo, exec_lo, s1
	s_cbranch_vccnz .LBB15_240
; %bb.239:
	global_load_dword v3, v[1:2], off
	s_waitcnt vmcnt(0)
	v_cvt_f32_f16_e32 v3, v3
.LBB15_240:
	s_mov_b32 s1, 0
.LBB15_241:
	s_andn2_b32 vcc_lo, exec_lo, s1
	s_cbranch_vccnz .LBB15_252
; %bb.242:
	s_cmp_lt_i32 s0, 6
	s_cbranch_scc1 .LBB15_245
; %bb.243:
	s_cmp_gt_i32 s0, 6
	s_cbranch_scc0 .LBB15_246
; %bb.244:
	global_load_dwordx2 v[3:4], v[1:2], off
	s_mov_b32 s1, 0
	s_waitcnt vmcnt(0)
	v_cvt_f32_f64_e32 v3, v[3:4]
	s_branch .LBB15_247
.LBB15_245:
	s_mov_b32 s1, -1
                                        ; implicit-def: $vgpr3
	s_branch .LBB15_250
.LBB15_246:
	s_mov_b32 s1, -1
                                        ; implicit-def: $vgpr3
.LBB15_247:
	s_andn2_b32 vcc_lo, exec_lo, s1
	s_cbranch_vccnz .LBB15_249
; %bb.248:
	global_load_dword v3, v[1:2], off
.LBB15_249:
	s_mov_b32 s1, 0
.LBB15_250:
	s_andn2_b32 vcc_lo, exec_lo, s1
	s_cbranch_vccnz .LBB15_252
; %bb.251:
	global_load_ushort v3, v[1:2], off
	s_waitcnt vmcnt(0)
	v_cvt_f32_f16_e32 v3, v3
.LBB15_252:
	s_cbranch_execnz .LBB15_272
.LBB15_253:
	s_cmp_lt_i32 s0, 2
	s_cbranch_scc1 .LBB15_257
; %bb.254:
	s_cmp_lt_i32 s0, 3
	s_cbranch_scc1 .LBB15_258
; %bb.255:
	s_cmp_gt_i32 s0, 3
	s_cbranch_scc0 .LBB15_259
; %bb.256:
	global_load_dwordx2 v[3:4], v[1:2], off
	s_mov_b32 s1, 0
	s_waitcnt vmcnt(0)
	v_xor_b32_e32 v5, v3, v4
	v_ffbh_i32_e32 v6, v4
	v_ashrrev_i32_e32 v5, 31, v5
	v_add_nc_u32_e32 v6, -1, v6
	v_add_nc_u32_e32 v5, 32, v5
	v_min_u32_e32 v5, v6, v5
	v_lshlrev_b64 v[3:4], v5, v[3:4]
	v_min_u32_e32 v3, 1, v3
	v_or_b32_e32 v3, v4, v3
	v_sub_nc_u32_e32 v4, 32, v5
	v_cvt_f32_i32_e32 v3, v3
	v_ldexp_f32 v3, v3, v4
	s_branch .LBB15_260
.LBB15_257:
	s_mov_b32 s1, -1
                                        ; implicit-def: $vgpr3
	s_branch .LBB15_266
.LBB15_258:
	s_mov_b32 s1, -1
                                        ; implicit-def: $vgpr3
	s_branch .LBB15_263
.LBB15_259:
	s_mov_b32 s1, -1
                                        ; implicit-def: $vgpr3
.LBB15_260:
	s_andn2_b32 vcc_lo, exec_lo, s1
	s_cbranch_vccnz .LBB15_262
; %bb.261:
	global_load_dword v3, v[1:2], off
	s_waitcnt vmcnt(0)
	v_cvt_f32_i32_e32 v3, v3
.LBB15_262:
	s_mov_b32 s1, 0
.LBB15_263:
	s_andn2_b32 vcc_lo, exec_lo, s1
	s_cbranch_vccnz .LBB15_265
; %bb.264:
	global_load_sshort v3, v[1:2], off
	s_waitcnt vmcnt(0)
	v_cvt_f32_i32_e32 v3, v3
.LBB15_265:
	s_mov_b32 s1, 0
.LBB15_266:
	s_andn2_b32 vcc_lo, exec_lo, s1
	s_cbranch_vccnz .LBB15_272
; %bb.267:
	s_cmp_gt_i32 s0, 0
	s_mov_b32 s0, 0
	s_cbranch_scc0 .LBB15_269
; %bb.268:
	global_load_sbyte v3, v[1:2], off
	s_waitcnt vmcnt(0)
	v_cvt_f32_i32_e32 v3, v3
	s_branch .LBB15_270
.LBB15_269:
	s_mov_b32 s0, -1
                                        ; implicit-def: $vgpr3
.LBB15_270:
	s_andn2_b32 vcc_lo, exec_lo, s0
	s_cbranch_vccnz .LBB15_272
; %bb.271:
	global_load_ubyte v1, v[1:2], off
	s_waitcnt vmcnt(0)
	v_cvt_f32_ubyte0_e32 v3, v1
.LBB15_272:
	s_branch .LBB15_25
.LBB15_273:
	s_mov_b32 s0, 0
.LBB15_274:
	s_mov_b32 s1, 0
                                        ; implicit-def: $vgpr8
.LBB15_275:
	s_and_b32 s36, s0, exec_lo
	s_and_b32 s37, s22, exec_lo
	s_orn2_b32 s1, s1, exec_lo
.LBB15_276:
	s_or_b32 exec_lo, exec_lo, s38
	s_mov_b32 s22, 0
	s_mov_b32 s0, 0
                                        ; implicit-def: $vgpr1_vgpr2
                                        ; implicit-def: $vgpr0
                                        ; implicit-def: $vgpr5
	s_and_saveexec_b32 s38, s1
	s_cbranch_execz .LBB15_283
; %bb.277:
	s_mov_b32 s0, -1
	s_mov_b32 s39, s37
	s_mov_b32 s40, s36
	s_mov_b32 s41, exec_lo
	v_cmpx_gt_i32_e64 s33, v8
	s_cbranch_execz .LBB15_563
; %bb.278:
	s_andn2_b32 vcc_lo, exec_lo, s27
	s_cbranch_vccnz .LBB15_286
; %bb.279:
	s_andn2_b32 vcc_lo, exec_lo, s34
	s_cbranch_vccnz .LBB15_287
; %bb.280:
	s_add_i32 s40, s35, 1
	s_cmp_eq_u32 s25, 2
	s_cbranch_scc1 .LBB15_288
; %bb.281:
	v_mov_b32_e32 v2, 0
	v_mov_b32_e32 v0, 0
	;; [unrolled: 1-line block ×3, first 2 shown]
	s_and_b32 s39, s40, 28
	s_mov_b32 s42, 0
	s_mov_b64 s[0:1], s[2:3]
	s_mov_b64 s[22:23], s[20:21]
.LBB15_282:                             ; =>This Inner Loop Header: Depth=1
	s_clause 0x1
	s_load_dwordx8 s[44:51], s[0:1], 0x4
	s_load_dwordx4 s[60:63], s[0:1], 0x24
	s_load_dwordx8 s[52:59], s[22:23], 0x0
	s_add_u32 s0, s0, 48
	s_addc_u32 s1, s1, 0
	s_add_i32 s42, s42, 4
	s_add_u32 s22, s22, 32
	s_addc_u32 s23, s23, 0
	s_cmp_eq_u32 s39, s42
	s_waitcnt vmcnt(0) lgkmcnt(0)
	v_mul_hi_u32 v3, s45, v1
	v_add_nc_u32_e32 v3, v1, v3
	v_lshrrev_b32_e32 v3, s46, v3
	v_mul_hi_u32 v4, s48, v3
	v_mul_lo_u32 v6, v3, s44
	v_add_nc_u32_e32 v4, v3, v4
	v_sub_nc_u32_e32 v1, v1, v6
	v_lshrrev_b32_e32 v4, s49, v4
	v_mul_lo_u32 v6, v1, s52
	v_mul_lo_u32 v9, v1, s53
	v_mul_hi_u32 v5, s51, v4
	v_add_nc_u32_e32 v5, v4, v5
	v_lshrrev_b32_e32 v5, s60, v5
	v_mul_hi_u32 v7, s62, v5
	v_mul_lo_u32 v10, v5, s50
	v_add_nc_u32_e32 v1, v5, v7
	v_mul_lo_u32 v7, v4, s47
	v_sub_nc_u32_e32 v4, v4, v10
	v_lshrrev_b32_e32 v1, s63, v1
	v_mul_lo_u32 v10, v4, s56
	v_mul_lo_u32 v4, v4, s57
	v_sub_nc_u32_e32 v3, v3, v7
	v_mul_lo_u32 v11, v1, s61
	v_mul_lo_u32 v7, v3, s54
	;; [unrolled: 1-line block ×3, first 2 shown]
	v_sub_nc_u32_e32 v5, v5, v11
	v_add3_u32 v0, v6, v0, v7
	v_mul_lo_u32 v11, v5, s58
	v_mul_lo_u32 v5, v5, s59
	v_add3_u32 v2, v9, v2, v3
	v_add3_u32 v0, v10, v0, v11
	;; [unrolled: 1-line block ×3, first 2 shown]
	s_cbranch_scc0 .LBB15_282
	s_branch .LBB15_289
.LBB15_283:
	s_or_b32 exec_lo, exec_lo, s38
	s_waitcnt lgkmcnt(0)
	s_mov_b32 s6, 0
	s_and_saveexec_b32 s1, s37
	s_cbranch_execnz .LBB15_951
.LBB15_284:
	s_or_b32 exec_lo, exec_lo, s1
	s_and_saveexec_b32 s1, s39
	s_xor_b32 s1, exec_lo, s1
	s_cbranch_execz .LBB15_952
.LBB15_285:
	global_load_ubyte v3, v[1:2], off
	s_or_b32 s0, s0, exec_lo
	s_waitcnt vmcnt(0)
	v_cmp_ne_u16_e32 vcc_lo, 0, v3
	v_cndmask_b32_e64 v5, 0, 1.0, vcc_lo
	s_or_b32 exec_lo, exec_lo, s1
	s_and_saveexec_b32 s1, s22
	s_cbranch_execz .LBB15_998
	s_branch .LBB15_953
.LBB15_286:
                                        ; implicit-def: $vgpr0
                                        ; implicit-def: $vgpr2
	s_andn2_b32 vcc_lo, exec_lo, s0
	s_cbranch_vccz .LBB15_293
	s_branch .LBB15_295
.LBB15_287:
	v_mov_b32_e32 v0, 0
	v_mov_b32_e32 v2, 0
	s_branch .LBB15_292
.LBB15_288:
	v_mov_b32_e32 v0, 0
	v_mov_b32_e32 v2, 0
	;; [unrolled: 1-line block ×3, first 2 shown]
	s_mov_b32 s39, 0
.LBB15_289:
	s_and_b32 s40, s40, 3
	s_cmp_eq_u32 s40, 0
	s_cbranch_scc1 .LBB15_292
; %bb.290:
	s_lshl_b32 s0, s39, 3
	s_mul_i32 s22, s39, 12
	s_add_u32 s0, s2, s0
	s_addc_u32 s1, s3, 0
	s_add_u32 s0, s0, 0xc4
	s_addc_u32 s1, s1, 0
	;; [unrolled: 2-line block ×3, first 2 shown]
	.p2align	6
.LBB15_291:                             ; =>This Inner Loop Header: Depth=1
	s_clause 0x1
	s_load_dwordx2 s[42:43], s[22:23], 0x4
	s_load_dword s39, s[22:23], 0xc
	s_load_dwordx2 s[44:45], s[0:1], 0x0
	s_add_u32 s22, s22, 12
	s_addc_u32 s23, s23, 0
	s_add_u32 s0, s0, 8
	s_addc_u32 s1, s1, 0
	s_add_i32 s40, s40, -1
	s_cmp_lg_u32 s40, 0
	s_waitcnt vmcnt(0) lgkmcnt(0)
	v_mul_hi_u32 v3, s43, v1
	v_add_nc_u32_e32 v3, v1, v3
	v_lshrrev_b32_e32 v4, s39, v3
	v_mul_lo_u32 v3, v4, s42
	v_sub_nc_u32_e32 v3, v1, v3
	v_mad_u64_u32 v[0:1], null, v3, s44, v[0:1]
	v_mad_u64_u32 v[2:3], null, v3, s45, v[2:3]
	v_mov_b32_e32 v1, v4
	s_cbranch_scc1 .LBB15_291
.LBB15_292:
	s_cbranch_execnz .LBB15_295
.LBB15_293:
	s_waitcnt lgkmcnt(0)
	v_mul_hi_u32 v0, s17, v8
	s_andn2_b32 vcc_lo, exec_lo, s31
	v_add_nc_u32_e32 v0, v8, v0
	v_lshrrev_b32_e32 v1, s18, v0
	v_mul_lo_u32 v0, v1, s16
	v_sub_nc_u32_e32 v2, v8, v0
	v_mul_lo_u32 v0, v2, s12
	v_mul_lo_u32 v2, v2, s13
	s_cbranch_vccnz .LBB15_295
; %bb.294:
	s_waitcnt vmcnt(0)
	v_mul_hi_u32 v3, s6, v1
	v_add_nc_u32_e32 v3, v1, v3
	v_lshrrev_b32_e32 v3, s7, v3
	v_mul_lo_u32 v3, v3, s19
	v_sub_nc_u32_e32 v3, v1, v3
	v_mad_u64_u32 v[0:1], null, v3, s14, v[0:1]
	v_mad_u64_u32 v[2:3], null, v3, s15, v[2:3]
.LBB15_295:
	s_waitcnt lgkmcnt(0)
	v_add_co_u32 v1, s0, s10, v2
	v_add_co_ci_u32_e64 v2, null, s11, 0, s0
	s_and_b32 s0, 0xffff, s30
	s_cmp_lt_i32 s0, 11
	s_cbranch_scc1 .LBB15_302
; %bb.296:
	s_cmp_gt_i32 s0, 25
	s_cbranch_scc0 .LBB15_321
; %bb.297:
	s_cmp_gt_i32 s0, 28
	s_cbranch_scc0 .LBB15_323
	;; [unrolled: 3-line block ×4, first 2 shown]
; %bb.300:
	s_cmp_eq_u32 s0, 46
	s_mov_b32 s23, 0
	s_cbranch_scc0 .LBB15_333
; %bb.301:
	global_load_dword v3, v[1:2], off
	s_mov_b32 s1, -1
	s_mov_b32 s22, 0
	s_waitcnt vmcnt(0)
	v_lshlrev_b32_e32 v3, 16, v3
	s_branch .LBB15_335
.LBB15_302:
	s_mov_b32 s1, 0
	s_mov_b32 s22, s37
                                        ; implicit-def: $vgpr3
	s_cbranch_execnz .LBB15_512
.LBB15_303:
	s_andn2_b32 vcc_lo, exec_lo, s1
	s_cbranch_vccnz .LBB15_560
.LBB15_304:
	v_mov_b32_e32 v1, 0
	s_mov_b32 s23, exec_lo
	s_waitcnt vmcnt(0)
	v_cmpx_neq_f32_e64 0x7f800000, |v3|
	s_cbranch_execz .LBB15_314
; %bb.305:
                                        ; implicit-def: $vgpr1
	s_mov_b32 s1, exec_lo
	v_cmpx_nlt_f32_e64 |v3|, 0.5
	s_xor_b32 s39, exec_lo, s1
	s_cbranch_execz .LBB15_311
; %bb.306:
	v_and_b32_e32 v1, 0x7fffffff, v3
                                        ; implicit-def: $vgpr4
                                        ; implicit-def: $vgpr2
	s_mov_b32 s1, exec_lo
	v_cmpx_ngt_f32_e64 0x48000000, |v3|
	s_xor_b32 s40, exec_lo, s1
	s_cbranch_execz .LBB15_308
; %bb.307:
	s_mov_b32 s0, 0x7fffff
	v_mov_b32_e32 v6, 0
	v_and_or_b32 v2, v1, s0, 0x800000
	v_lshrrev_b32_e32 v7, 23, v1
	v_mad_u64_u32 v[4:5], null, 0xfe5163ab, v2, 0
	v_add_nc_u32_e32 v7, 0xffffff88, v7
	v_cmp_lt_u32_e32 vcc_lo, 63, v7
	v_mad_u64_u32 v[9:10], null, 0x3c439041, v2, v[5:6]
	v_cndmask_b32_e64 v14, 0, 0xffffffc0, vcc_lo
	v_mov_b32_e32 v5, v10
	v_add_nc_u32_e32 v7, v14, v7
	v_mad_u64_u32 v[10:11], null, 0xdb629599, v2, v[5:6]
	v_cmp_lt_u32_e64 s0, 31, v7
	v_cndmask_b32_e64 v15, 0, 0xffffffe0, s0
	v_mov_b32_e32 v5, v11
	v_cndmask_b32_e32 v4, v10, v4, vcc_lo
	v_add_nc_u32_e32 v7, v15, v7
	v_mad_u64_u32 v[11:12], null, 0xf534ddc0, v2, v[5:6]
	v_cmp_lt_u32_e64 s1, 31, v7
	v_mov_b32_e32 v5, v12
	v_mad_u64_u32 v[12:13], null, 0xfc2757d1, v2, v[5:6]
	v_mov_b32_e32 v5, v13
	v_mad_u64_u32 v[13:14], null, 0x4e441529, v2, v[5:6]
	v_mov_b32_e32 v5, v14
	v_cndmask_b32_e32 v14, v13, v11, vcc_lo
	v_mad_u64_u32 v[5:6], null, 0xa2f9836e, v2, v[5:6]
	v_cndmask_b32_e64 v2, 0, 0xffffffe0, s1
	v_add_nc_u32_e32 v2, v2, v7
	v_cndmask_b32_e32 v5, v5, v12, vcc_lo
	v_cndmask_b32_e32 v6, v6, v13, vcc_lo
	;; [unrolled: 1-line block ×4, first 2 shown]
	v_sub_nc_u32_e32 v11, 32, v2
	v_cndmask_b32_e64 v9, v5, v14, s0
	v_cndmask_b32_e64 v5, v6, v5, s0
	;; [unrolled: 1-line block ×4, first 2 shown]
	v_cmp_eq_u32_e32 vcc_lo, 0, v2
	v_cndmask_b32_e64 v4, v7, v4, s0
	v_cndmask_b32_e64 v5, v5, v9, s1
	;; [unrolled: 1-line block ×5, first 2 shown]
	v_alignbit_b32 v13, v5, v9, v11
	v_alignbit_b32 v10, v9, v6, v11
	;; [unrolled: 1-line block ×3, first 2 shown]
	v_cndmask_b32_e32 v2, v13, v5, vcc_lo
	v_cndmask_b32_e32 v5, v10, v9, vcc_lo
	;; [unrolled: 1-line block ×3, first 2 shown]
	v_bfe_u32 v7, v2, 29, 1
	v_alignbit_b32 v9, v2, v5, 30
	v_alignbit_b32 v5, v5, v6, 30
	;; [unrolled: 1-line block ×3, first 2 shown]
	v_sub_nc_u32_e32 v10, 0, v7
	v_xor_b32_e32 v9, v9, v10
	v_xor_b32_e32 v5, v5, v10
	;; [unrolled: 1-line block ×3, first 2 shown]
	v_lshrrev_b32_e32 v10, 29, v2
	v_ffbh_u32_e32 v11, v9
	v_min_u32_e32 v11, 32, v11
	v_sub_nc_u32_e32 v6, 31, v11
	v_lshlrev_b32_e32 v12, 23, v11
	v_alignbit_b32 v9, v9, v5, v6
	v_alignbit_b32 v4, v5, v4, v6
	v_lshlrev_b32_e32 v5, 31, v10
	v_alignbit_b32 v6, v9, v4, 9
	v_or_b32_e32 v10, 0.5, v5
	v_lshrrev_b32_e32 v9, 9, v9
	v_or_b32_e32 v5, 0x33000000, v5
	v_ffbh_u32_e32 v13, v6
	v_sub_nc_u32_e32 v10, v10, v12
	v_min_u32_e32 v12, 32, v13
	v_or_b32_e32 v9, v9, v10
	v_not_b32_e32 v10, v12
	v_mul_f32_e32 v13, 0x3fc90fda, v9
	v_add_lshl_u32 v11, v12, v11, 23
	v_alignbit_b32 v4, v6, v4, v10
	v_fma_f32 v6, 0x3fc90fda, v9, -v13
	v_sub_nc_u32_e32 v5, v5, v11
	v_lshrrev_b32_e32 v4, 9, v4
	v_fmamk_f32 v6, v9, 0x33a22168, v6
	v_or_b32_e32 v4, v5, v4
	v_fmac_f32_e32 v6, 0x3fc90fda, v4
	v_lshrrev_b32_e32 v4, 30, v2
	v_add_f32_e32 v2, v13, v6
	v_add_nc_u32_e32 v4, v7, v4
.LBB15_308:
	s_andn2_saveexec_b32 s0, s40
; %bb.309:
	v_mul_f32_e64 v2, 0x3f22f983, |v3|
	v_rndne_f32_e32 v4, v2
	v_fma_f32 v2, 0xbfc90fda, v4, |v3|
	v_fmamk_f32 v2, v4, 0xb3a22168, v2
	v_fmamk_f32 v2, v4, 0xa7c234c4, v2
	v_cvt_i32_f32_e32 v4, v4
; %bb.310:
	s_or_b32 exec_lo, exec_lo, s0
	v_mul_f32_e32 v5, v2, v2
	s_mov_b32 s0, 0xb94c1982
	s_mov_b32 s1, 0x37d75334
	v_and_b32_e32 v9, 1, v4
	v_lshlrev_b32_e32 v4, 30, v4
	v_fmaak_f32 v6, s0, v5, 0x3c0881c4
	v_fmaak_f32 v7, s1, v5, 0xbab64f3b
	v_xor_b32_e32 v1, v1, v3
	v_cmp_eq_u32_e32 vcc_lo, 0, v9
	v_and_b32_e32 v4, 0x80000000, v4
	v_fmaak_f32 v6, v5, v6, 0xbe2aaa9d
	v_fmaak_f32 v7, v5, v7, 0x3d2aabf7
	v_mul_f32_e32 v6, v5, v6
	v_fmaak_f32 v7, v5, v7, 0xbf000004
	v_fmac_f32_e32 v2, v2, v6
	v_fma_f32 v5, v5, v7, 1.0
	v_cndmask_b32_e32 v2, v5, v2, vcc_lo
	v_cmp_class_f32_e64 vcc_lo, v3, 0x1f8
	v_xor3_b32 v1, v1, v4, v2
	v_cndmask_b32_e32 v1, 0x7fc00000, v1, vcc_lo
	v_div_scale_f32 v2, null, v3, v3, v1
	v_rcp_f32_e32 v4, v2
	v_fma_f32 v5, -v2, v4, 1.0
	v_fmac_f32_e32 v4, v5, v4
	v_div_scale_f32 v5, vcc_lo, v1, v3, v1
	v_mul_f32_e32 v6, v5, v4
	v_fma_f32 v7, -v2, v6, v5
	v_fmac_f32_e32 v6, v7, v4
	v_fma_f32 v2, -v2, v6, v5
	v_div_fmas_f32 v2, v2, v4, v6
	v_div_fixup_f32 v1, v2, v3, v1
                                        ; implicit-def: $vgpr3
.LBB15_311:
	s_andn2_saveexec_b32 s0, s39
	s_cbranch_execz .LBB15_313
; %bb.312:
	v_mul_f32_e32 v1, v3, v3
	s_mov_b32 s1, 0x2f309231
	v_fmaak_f32 v2, s1, v1, 0xb2d7322b
	v_fmaak_f32 v2, v1, v2, 0x3638ef1d
	;; [unrolled: 1-line block ×5, first 2 shown]
	v_fma_f32 v1, v1, v2, 1.0
.LBB15_313:
	s_or_b32 exec_lo, exec_lo, s0
.LBB15_314:
	s_or_b32 exec_lo, exec_lo, s23
	v_add_co_u32 v3, s0, s8, v0
	v_add_co_ci_u32_e64 v4, null, s9, 0, s0
	s_and_b32 s1, s29, 0xff
	s_cmp_lt_i32 s1, 11
	s_cbranch_scc1 .LBB15_322
; %bb.315:
	s_and_b32 s23, 0xffff, s1
	s_cmp_gt_i32 s23, 25
	s_cbranch_scc0 .LBB15_324
; %bb.316:
	s_cmp_gt_i32 s23, 28
	s_cbranch_scc0 .LBB15_326
; %bb.317:
	;; [unrolled: 3-line block ×4, first 2 shown]
	s_mov_b32 s40, 0
	s_mov_b32 s0, -1
	s_cmp_eq_u32 s23, 46
	s_mov_b32 s39, 0
	s_cbranch_scc0 .LBB15_339
; %bb.320:
	v_bfe_u32 v0, v1, 16, 1
	v_cmp_o_f32_e32 vcc_lo, v1, v1
	v_mov_b32_e32 v2, 0x7fc0
	s_mov_b32 s39, -1
	s_mov_b32 s0, 0
	v_add3_u32 v0, v1, v0, 0x7fff
	v_cndmask_b32_sdwa v0, v2, v0, vcc_lo dst_sel:DWORD dst_unused:UNUSED_PAD src0_sel:DWORD src1_sel:WORD_1
	global_store_dword v[3:4], v0, off
	s_branch .LBB15_339
.LBB15_321:
	s_mov_b32 s23, -1
	s_mov_b32 s1, 0
	s_mov_b32 s22, s37
                                        ; implicit-def: $vgpr3
	s_branch .LBB15_476
.LBB15_322:
	s_mov_b32 s23, -1
	s_mov_b32 s39, 0
	s_mov_b32 s0, s36
	s_branch .LBB15_408
.LBB15_323:
	s_mov_b32 s23, -1
	s_mov_b32 s1, 0
	s_mov_b32 s22, s37
                                        ; implicit-def: $vgpr3
	s_branch .LBB15_457
.LBB15_324:
	s_mov_b32 s40, -1
	s_mov_b32 s39, 0
	s_mov_b32 s0, s36
	s_branch .LBB15_366
.LBB15_325:
	s_mov_b32 s23, -1
	s_mov_b32 s1, 0
	s_mov_b32 s22, s37
                                        ; implicit-def: $vgpr3
	s_branch .LBB15_452
.LBB15_326:
	s_mov_b32 s40, -1
	s_mov_b32 s39, 0
	s_mov_b32 s0, s36
	s_branch .LBB15_349
.LBB15_327:
	s_andn2_saveexec_b32 s40, s40
	s_cbranch_execz .LBB15_78
.LBB15_328:
	v_add_f32_e64 v0, 0x46000000, |v1|
	s_andn2_b32 s37, s37, exec_lo
	v_and_b32_e32 v0, 0xff, v0
	v_cmp_ne_u32_e32 vcc_lo, 0, v0
	s_and_b32 s41, vcc_lo, exec_lo
	s_or_b32 s37, s37, s41
	s_or_b32 exec_lo, exec_lo, s40
	v_mov_b32_e32 v2, 0
	s_and_saveexec_b32 s40, s37
	s_cbranch_execnz .LBB15_79
	s_branch .LBB15_80
.LBB15_329:
	s_mov_b32 s23, -1
	s_mov_b32 s1, 0
	s_mov_b32 s22, s37
	s_branch .LBB15_334
.LBB15_330:
	s_mov_b32 s40, -1
	s_mov_b32 s39, 0
	s_mov_b32 s0, s36
	s_branch .LBB15_345
.LBB15_331:
	s_andn2_saveexec_b32 s40, s40
	s_cbranch_execz .LBB15_91
.LBB15_332:
	v_add_f32_e64 v0, 0x42800000, |v1|
	s_andn2_b32 s37, s37, exec_lo
	v_and_b32_e32 v0, 0xff, v0
	v_cmp_ne_u32_e32 vcc_lo, 0, v0
	s_and_b32 s41, vcc_lo, exec_lo
	s_or_b32 s37, s37, s41
	s_or_b32 exec_lo, exec_lo, s40
	v_mov_b32_e32 v2, 0
	s_and_saveexec_b32 s40, s37
	s_cbranch_execnz .LBB15_92
	s_branch .LBB15_93
.LBB15_333:
	s_mov_b32 s22, -1
	s_mov_b32 s1, 0
.LBB15_334:
                                        ; implicit-def: $vgpr3
.LBB15_335:
	s_and_b32 vcc_lo, exec_lo, s23
	s_cbranch_vccz .LBB15_451
; %bb.336:
	s_cmp_eq_u32 s0, 44
	s_cbranch_scc0 .LBB15_450
; %bb.337:
	global_load_ubyte v3, v[1:2], off
	s_mov_b32 s22, 0
	s_mov_b32 s1, -1
	s_waitcnt vmcnt(0)
	v_lshlrev_b32_e32 v4, 23, v3
	v_cmp_ne_u32_e32 vcc_lo, 0xff, v3
	v_cndmask_b32_e32 v4, 0x7f800001, v4, vcc_lo
	v_cmp_ne_u32_e32 vcc_lo, 0, v3
	v_cndmask_b32_e32 v3, 0x400000, v4, vcc_lo
	s_branch .LBB15_451
.LBB15_338:
	s_mov_b32 s40, -1
	s_mov_b32 s39, 0
	s_mov_b32 s0, s36
.LBB15_339:
	s_and_b32 vcc_lo, exec_lo, s40
	s_cbranch_vccz .LBB15_344
; %bb.340:
	s_cmp_eq_u32 s23, 44
	s_mov_b32 s0, -1
	s_cbranch_scc0 .LBB15_344
; %bb.341:
	v_bfe_u32 v2, v1, 23, 8
	v_mov_b32_e32 v0, 0xff
	s_mov_b32 s39, exec_lo
	v_cmpx_ne_u32_e32 0xff, v2
	s_cbranch_execz .LBB15_343
; %bb.342:
	v_and_b32_e32 v0, 0x400000, v1
	v_and_or_b32 v2, 0x3fffff, v1, v2
	v_cmp_ne_u32_e32 vcc_lo, 0, v0
	v_cmp_ne_u32_e64 s0, 0, v2
	v_lshrrev_b32_e32 v0, 23, v1
	s_and_b32 s0, vcc_lo, s0
	v_cndmask_b32_e64 v2, 0, 1, s0
	v_add_nc_u32_e32 v0, v0, v2
.LBB15_343:
	s_or_b32 exec_lo, exec_lo, s39
	s_mov_b32 s39, -1
	s_mov_b32 s0, 0
	global_store_byte v[3:4], v0, off
.LBB15_344:
	s_mov_b32 s40, 0
.LBB15_345:
	s_and_b32 vcc_lo, exec_lo, s40
	s_cbranch_vccz .LBB15_348
; %bb.346:
	s_cmp_eq_u32 s23, 29
	s_mov_b32 s0, -1
	s_cbranch_scc0 .LBB15_348
; %bb.347:
	v_trunc_f32_e32 v0, v1
	s_mov_b32 s39, -1
	s_mov_b32 s0, 0
	s_mov_b32 s40, 0
	v_mul_f32_e32 v2, 0x2f800000, v0
	v_floor_f32_e32 v2, v2
	v_fmamk_f32 v0, v2, 0xcf800000, v0
	v_cvt_u32_f32_e32 v6, v2
	v_cvt_u32_f32_e32 v5, v0
	global_store_dwordx2 v[3:4], v[5:6], off
	s_branch .LBB15_349
.LBB15_348:
	s_mov_b32 s40, 0
.LBB15_349:
	s_and_b32 vcc_lo, exec_lo, s40
	s_cbranch_vccz .LBB15_365
; %bb.350:
	s_cmp_lt_i32 s23, 27
	s_mov_b32 s39, -1
	s_cbranch_scc1 .LBB15_356
; %bb.351:
	v_cvt_u32_f32_e32 v0, v1
	s_cmp_gt_i32 s23, 27
	s_cbranch_scc0 .LBB15_353
; %bb.352:
	s_mov_b32 s39, 0
	global_store_dword v[3:4], v0, off
.LBB15_353:
	s_andn2_b32 vcc_lo, exec_lo, s39
	s_cbranch_vccnz .LBB15_355
; %bb.354:
	global_store_short v[3:4], v0, off
.LBB15_355:
	s_mov_b32 s39, 0
.LBB15_356:
	s_andn2_b32 vcc_lo, exec_lo, s39
	s_cbranch_vccnz .LBB15_364
; %bb.357:
	v_and_b32_e32 v0, 0x7fffffff, v1
	v_mov_b32_e32 v2, 0x80
	s_mov_b32 s39, exec_lo
	v_cmpx_gt_u32_e32 0x43800000, v0
	s_cbranch_execz .LBB15_363
; %bb.358:
	v_cmp_lt_u32_e32 vcc_lo, 0x3bffffff, v0
	s_mov_b32 s40, 0
                                        ; implicit-def: $vgpr0
	s_and_saveexec_b32 s42, vcc_lo
	s_xor_b32 s42, exec_lo, s42
	s_cbranch_execz .LBB15_591
; %bb.359:
	v_bfe_u32 v0, v1, 20, 1
	s_mov_b32 s40, exec_lo
	v_add3_u32 v0, v1, v0, 0x487ffff
	v_lshrrev_b32_e32 v0, 20, v0
	s_andn2_saveexec_b32 s42, s42
	s_cbranch_execnz .LBB15_592
.LBB15_360:
	s_or_b32 exec_lo, exec_lo, s42
	v_mov_b32_e32 v2, 0
	s_and_saveexec_b32 s42, s40
.LBB15_361:
	v_lshrrev_b32_e32 v2, 24, v1
	v_and_or_b32 v2, 0x80, v2, v0
.LBB15_362:
	s_or_b32 exec_lo, exec_lo, s42
.LBB15_363:
	s_or_b32 exec_lo, exec_lo, s39
	global_store_byte v[3:4], v2, off
.LBB15_364:
	s_mov_b32 s39, -1
.LBB15_365:
	s_mov_b32 s40, 0
.LBB15_366:
	s_and_b32 vcc_lo, exec_lo, s40
	s_cbranch_vccz .LBB15_407
; %bb.367:
	s_cmp_gt_i32 s23, 22
	s_mov_b32 s40, -1
	s_cbranch_scc0 .LBB15_399
; %bb.368:
	s_cmp_lt_i32 s23, 24
	s_mov_b32 s39, -1
	s_cbranch_scc1 .LBB15_388
; %bb.369:
	s_cmp_gt_i32 s23, 24
	s_cbranch_scc0 .LBB15_377
; %bb.370:
	v_and_b32_e32 v0, 0x7fffffff, v1
	v_mov_b32_e32 v2, 0x80
	s_mov_b32 s39, exec_lo
	v_cmpx_gt_u32_e32 0x47800000, v0
	s_cbranch_execz .LBB15_376
; %bb.371:
	v_cmp_lt_u32_e32 vcc_lo, 0x37ffffff, v0
	s_mov_b32 s40, 0
                                        ; implicit-def: $vgpr0
	s_and_saveexec_b32 s42, vcc_lo
	s_xor_b32 s42, exec_lo, s42
	s_cbranch_execz .LBB15_594
; %bb.372:
	v_bfe_u32 v0, v1, 21, 1
	s_mov_b32 s40, exec_lo
	v_add3_u32 v0, v1, v0, 0x88fffff
	v_lshrrev_b32_e32 v0, 21, v0
	s_andn2_saveexec_b32 s42, s42
	s_cbranch_execnz .LBB15_595
.LBB15_373:
	s_or_b32 exec_lo, exec_lo, s42
	v_mov_b32_e32 v2, 0
	s_and_saveexec_b32 s42, s40
.LBB15_374:
	v_lshrrev_b32_e32 v2, 24, v1
	v_and_or_b32 v2, 0x80, v2, v0
.LBB15_375:
	s_or_b32 exec_lo, exec_lo, s42
.LBB15_376:
	s_or_b32 exec_lo, exec_lo, s39
	s_mov_b32 s39, 0
	global_store_byte v[3:4], v2, off
.LBB15_377:
	s_and_b32 vcc_lo, exec_lo, s39
	s_cbranch_vccz .LBB15_387
; %bb.378:
	v_and_b32_e32 v2, 0x7fffffff, v1
	s_mov_b32 s39, exec_lo
                                        ; implicit-def: $vgpr0
	v_cmpx_gt_u32_e32 0x43f00000, v2
	s_xor_b32 s39, exec_lo, s39
	s_cbranch_execz .LBB15_384
; %bb.379:
	s_mov_b32 s40, exec_lo
                                        ; implicit-def: $vgpr0
	v_cmpx_lt_u32_e32 0x3c7fffff, v2
	s_xor_b32 s40, exec_lo, s40
; %bb.380:
	v_bfe_u32 v0, v1, 20, 1
	v_add3_u32 v0, v1, v0, 0x407ffff
	v_and_b32_e32 v2, 0xff00000, v0
	v_lshrrev_b32_e32 v0, 20, v0
	v_cmp_ne_u32_e32 vcc_lo, 0x7f00000, v2
	v_cndmask_b32_e32 v0, 0x7e, v0, vcc_lo
; %bb.381:
	s_andn2_saveexec_b32 s40, s40
; %bb.382:
	v_add_f32_e64 v0, 0x46800000, |v1|
; %bb.383:
	s_or_b32 exec_lo, exec_lo, s40
                                        ; implicit-def: $vgpr2
.LBB15_384:
	s_andn2_saveexec_b32 s39, s39
; %bb.385:
	v_mov_b32_e32 v0, 0x7f
	v_cmp_lt_u32_e32 vcc_lo, 0x7f800000, v2
	v_cndmask_b32_e32 v0, 0x7e, v0, vcc_lo
; %bb.386:
	s_or_b32 exec_lo, exec_lo, s39
	v_lshrrev_b32_e32 v2, 24, v1
	v_and_or_b32 v0, 0x80, v2, v0
	global_store_byte v[3:4], v0, off
.LBB15_387:
	s_mov_b32 s39, 0
.LBB15_388:
	s_andn2_b32 vcc_lo, exec_lo, s39
	s_cbranch_vccnz .LBB15_398
; %bb.389:
	v_and_b32_e32 v2, 0x7fffffff, v1
	s_mov_b32 s39, exec_lo
                                        ; implicit-def: $vgpr0
	v_cmpx_gt_u32_e32 0x47800000, v2
	s_xor_b32 s39, exec_lo, s39
	s_cbranch_execz .LBB15_395
; %bb.390:
	s_mov_b32 s40, exec_lo
                                        ; implicit-def: $vgpr0
	v_cmpx_lt_u32_e32 0x387fffff, v2
	s_xor_b32 s40, exec_lo, s40
; %bb.391:
	v_bfe_u32 v0, v1, 21, 1
	v_add3_u32 v0, v1, v0, 0x80fffff
	v_lshrrev_b32_e32 v0, 21, v0
; %bb.392:
	s_andn2_saveexec_b32 s40, s40
; %bb.393:
	v_add_f32_e64 v0, 0x43000000, |v1|
; %bb.394:
	s_or_b32 exec_lo, exec_lo, s40
                                        ; implicit-def: $vgpr2
.LBB15_395:
	s_andn2_saveexec_b32 s39, s39
; %bb.396:
	v_mov_b32_e32 v0, 0x7f
	v_cmp_lt_u32_e32 vcc_lo, 0x7f800000, v2
	v_cndmask_b32_e32 v0, 0x7c, v0, vcc_lo
; %bb.397:
	s_or_b32 exec_lo, exec_lo, s39
	v_lshrrev_b32_e32 v2, 24, v1
	v_and_or_b32 v0, 0x80, v2, v0
	global_store_byte v[3:4], v0, off
.LBB15_398:
	s_mov_b32 s40, 0
	s_mov_b32 s39, -1
.LBB15_399:
	s_andn2_b32 vcc_lo, exec_lo, s40
	s_cbranch_vccnz .LBB15_407
; %bb.400:
	s_cmp_gt_i32 s23, 14
	s_mov_b32 s40, -1
	s_cbranch_scc0 .LBB15_404
; %bb.401:
	s_cmp_eq_u32 s23, 15
	s_mov_b32 s0, -1
	s_cbranch_scc0 .LBB15_403
; %bb.402:
	v_bfe_u32 v0, v1, 16, 1
	v_cmp_o_f32_e32 vcc_lo, v1, v1
	v_mov_b32_e32 v2, 0x7fc0
	s_mov_b32 s39, -1
	s_mov_b32 s0, 0
	v_add3_u32 v0, v1, v0, 0x7fff
	v_cndmask_b32_sdwa v0, v2, v0, vcc_lo dst_sel:DWORD dst_unused:UNUSED_PAD src0_sel:DWORD src1_sel:WORD_1
	global_store_short v[3:4], v0, off
.LBB15_403:
	s_mov_b32 s40, 0
.LBB15_404:
	s_and_b32 vcc_lo, exec_lo, s40
	s_cbranch_vccz .LBB15_407
; %bb.405:
	s_cmp_eq_u32 s23, 11
	s_mov_b32 s0, -1
	s_cbranch_scc0 .LBB15_407
; %bb.406:
	v_cmp_neq_f32_e32 vcc_lo, 0, v1
	s_mov_b32 s0, 0
	s_mov_b32 s39, -1
	v_cndmask_b32_e64 v0, 0, 1, vcc_lo
	global_store_byte v[3:4], v0, off
.LBB15_407:
	s_mov_b32 s23, 0
.LBB15_408:
	s_and_b32 vcc_lo, exec_lo, s23
	s_cbranch_vccz .LBB15_447
; %bb.409:
	s_and_b32 s1, 0xffff, s1
	s_mov_b32 s23, -1
	s_cmp_lt_i32 s1, 5
	s_cbranch_scc1 .LBB15_430
; %bb.410:
	s_cmp_lt_i32 s1, 8
	s_cbranch_scc1 .LBB15_420
; %bb.411:
	;; [unrolled: 3-line block ×3, first 2 shown]
	s_cmp_gt_i32 s1, 9
	s_cbranch_scc0 .LBB15_414
; %bb.413:
	v_cvt_f64_f32_e32 v[9:10], v1
	v_mov_b32_e32 v11, 0
	s_mov_b32 s23, 0
	v_mov_b32_e32 v12, v11
	global_store_dwordx4 v[3:4], v[9:12], off
.LBB15_414:
	s_andn2_b32 vcc_lo, exec_lo, s23
	s_cbranch_vccnz .LBB15_416
; %bb.415:
	v_mov_b32_e32 v2, 0
	global_store_dwordx2 v[3:4], v[1:2], off
.LBB15_416:
	s_mov_b32 s23, 0
.LBB15_417:
	s_andn2_b32 vcc_lo, exec_lo, s23
	s_cbranch_vccnz .LBB15_419
; %bb.418:
	v_cvt_f16_f32_e32 v0, v1
	v_and_b32_e32 v0, 0xffff, v0
	global_store_dword v[3:4], v0, off
.LBB15_419:
	s_mov_b32 s23, 0
.LBB15_420:
	s_andn2_b32 vcc_lo, exec_lo, s23
	s_cbranch_vccnz .LBB15_429
; %bb.421:
	s_cmp_lt_i32 s1, 6
	s_mov_b32 s23, -1
	s_cbranch_scc1 .LBB15_427
; %bb.422:
	s_cmp_gt_i32 s1, 6
	s_cbranch_scc0 .LBB15_424
; %bb.423:
	v_cvt_f64_f32_e32 v[5:6], v1
	s_mov_b32 s23, 0
	global_store_dwordx2 v[3:4], v[5:6], off
.LBB15_424:
	s_andn2_b32 vcc_lo, exec_lo, s23
	s_cbranch_vccnz .LBB15_426
; %bb.425:
	global_store_dword v[3:4], v1, off
.LBB15_426:
	s_mov_b32 s23, 0
.LBB15_427:
	s_andn2_b32 vcc_lo, exec_lo, s23
	s_cbranch_vccnz .LBB15_429
; %bb.428:
	v_cvt_f16_f32_e32 v0, v1
	global_store_short v[3:4], v0, off
.LBB15_429:
	s_mov_b32 s23, 0
.LBB15_430:
	s_andn2_b32 vcc_lo, exec_lo, s23
	s_cbranch_vccnz .LBB15_446
; %bb.431:
	s_cmp_lt_i32 s1, 2
	s_mov_b32 s23, -1
	s_cbranch_scc1 .LBB15_441
; %bb.432:
	s_cmp_lt_i32 s1, 3
	s_cbranch_scc1 .LBB15_438
; %bb.433:
	s_cmp_gt_i32 s1, 3
	s_cbranch_scc0 .LBB15_435
; %bb.434:
	v_trunc_f32_e32 v0, v1
	s_mov_b32 s23, 0
	v_mul_f32_e64 v2, 0x2f800000, |v0|
	v_floor_f32_e32 v2, v2
	v_fma_f32 v5, 0xcf800000, v2, |v0|
	v_ashrrev_i32_e32 v0, 31, v0
	v_cvt_u32_f32_e32 v2, v2
	v_cvt_u32_f32_e32 v5, v5
	v_xor_b32_e32 v2, v2, v0
	v_xor_b32_e32 v5, v5, v0
	v_sub_co_u32 v5, vcc_lo, v5, v0
	v_sub_co_ci_u32_e64 v6, null, v2, v0, vcc_lo
	global_store_dwordx2 v[3:4], v[5:6], off
.LBB15_435:
	s_andn2_b32 vcc_lo, exec_lo, s23
	s_cbranch_vccnz .LBB15_437
; %bb.436:
	v_cvt_i32_f32_e32 v0, v1
	global_store_dword v[3:4], v0, off
.LBB15_437:
	s_mov_b32 s23, 0
.LBB15_438:
	s_andn2_b32 vcc_lo, exec_lo, s23
	s_cbranch_vccnz .LBB15_440
; %bb.439:
	v_cvt_i32_f32_e32 v0, v1
	global_store_short v[3:4], v0, off
.LBB15_440:
	s_mov_b32 s23, 0
.LBB15_441:
	s_andn2_b32 vcc_lo, exec_lo, s23
	s_cbranch_vccnz .LBB15_446
; %bb.442:
	s_cmp_gt_i32 s1, 0
	s_mov_b32 s1, -1
	s_cbranch_scc0 .LBB15_444
; %bb.443:
	v_cvt_i32_f32_e32 v0, v1
	s_mov_b32 s1, 0
	global_store_byte v[3:4], v0, off
.LBB15_444:
	s_andn2_b32 vcc_lo, exec_lo, s1
	s_cbranch_vccnz .LBB15_446
; %bb.445:
	v_trunc_f32_e32 v0, v1
	v_mul_f32_e64 v1, 0x2f800000, |v0|
	v_floor_f32_e32 v1, v1
	v_fma_f32 v1, 0xcf800000, v1, |v0|
	v_ashrrev_i32_e32 v0, 31, v0
	v_cvt_u32_f32_e32 v1, v1
	v_xor_b32_e32 v1, v1, v0
	v_sub_nc_u32_e32 v0, v1, v0
	global_store_byte v[3:4], v0, off
.LBB15_446:
	s_mov_b32 s39, -1
.LBB15_447:
	s_andn2_b32 vcc_lo, exec_lo, s39
	s_cbranch_vccnz .LBB15_449
; %bb.448:
	v_add_nc_u32_e32 v8, 0x80, v8
	s_mov_b32 s1, -1
	s_branch .LBB15_562
.LBB15_449:
	s_mov_b32 s1, 0
	s_branch .LBB15_561
.LBB15_450:
	s_mov_b32 s22, -1
                                        ; implicit-def: $vgpr3
.LBB15_451:
	s_mov_b32 s23, 0
.LBB15_452:
	s_and_b32 vcc_lo, exec_lo, s23
	s_cbranch_vccz .LBB15_456
; %bb.453:
	s_cmp_eq_u32 s0, 29
	s_cbranch_scc0 .LBB15_455
; %bb.454:
	global_load_dwordx2 v[3:4], v[1:2], off
	s_mov_b32 s1, -1
	s_mov_b32 s22, 0
	s_mov_b32 s23, 0
	s_waitcnt vmcnt(0)
	v_ffbh_u32_e32 v5, v4
	v_min_u32_e32 v5, 32, v5
	v_lshlrev_b64 v[3:4], v5, v[3:4]
	v_min_u32_e32 v3, 1, v3
	v_or_b32_e32 v3, v4, v3
	v_sub_nc_u32_e32 v4, 32, v5
	v_cvt_f32_u32_e32 v3, v3
	v_ldexp_f32 v3, v3, v4
	s_branch .LBB15_457
.LBB15_455:
	s_mov_b32 s22, -1
                                        ; implicit-def: $vgpr3
.LBB15_456:
	s_mov_b32 s23, 0
.LBB15_457:
	s_and_b32 vcc_lo, exec_lo, s23
	s_cbranch_vccz .LBB15_475
; %bb.458:
	s_cmp_lt_i32 s0, 27
	s_cbranch_scc1 .LBB15_461
; %bb.459:
	s_cmp_gt_i32 s0, 27
	s_cbranch_scc0 .LBB15_462
; %bb.460:
	global_load_dword v3, v[1:2], off
	s_mov_b32 s1, 0
	s_waitcnt vmcnt(0)
	v_cvt_f32_u32_e32 v3, v3
	s_branch .LBB15_463
.LBB15_461:
	s_mov_b32 s1, -1
                                        ; implicit-def: $vgpr3
	s_branch .LBB15_466
.LBB15_462:
	s_mov_b32 s1, -1
                                        ; implicit-def: $vgpr3
.LBB15_463:
	s_andn2_b32 vcc_lo, exec_lo, s1
	s_cbranch_vccnz .LBB15_465
; %bb.464:
	global_load_ushort v3, v[1:2], off
	s_waitcnt vmcnt(0)
	v_cvt_f32_u32_e32 v3, v3
.LBB15_465:
	s_mov_b32 s1, 0
.LBB15_466:
	s_andn2_b32 vcc_lo, exec_lo, s1
	s_cbranch_vccnz .LBB15_474
; %bb.467:
	global_load_ubyte v4, v[1:2], off
	s_mov_b32 s1, 0
	s_mov_b32 s23, exec_lo
	s_waitcnt vmcnt(0)
	v_cmpx_lt_i16_e32 0x7f, v4
	s_xor_b32 s23, exec_lo, s23
	s_cbranch_execz .LBB15_488
; %bb.468:
	s_mov_b32 s1, -1
	s_mov_b32 s39, exec_lo
	v_cmpx_eq_u16_e32 0x80, v4
; %bb.469:
	s_xor_b32 s1, exec_lo, -1
; %bb.470:
	s_or_b32 exec_lo, exec_lo, s39
	s_and_b32 s1, s1, exec_lo
	s_or_saveexec_b32 s23, s23
	v_mov_b32_e32 v3, 0x7f800001
	s_xor_b32 exec_lo, exec_lo, s23
	s_cbranch_execnz .LBB15_489
.LBB15_471:
	s_or_b32 exec_lo, exec_lo, s23
	s_and_saveexec_b32 s23, s1
	s_cbranch_execz .LBB15_473
.LBB15_472:
	v_and_b32_e32 v3, 0xffff, v4
	v_lshlrev_b32_e32 v4, 24, v4
	v_and_b32_e32 v5, 7, v3
	v_bfe_u32 v9, v3, 3, 4
	v_and_b32_e32 v4, 0x80000000, v4
	v_ffbh_u32_e32 v6, v5
	v_cmp_eq_u32_e32 vcc_lo, 0, v9
	v_min_u32_e32 v6, 32, v6
	v_subrev_nc_u32_e32 v7, 28, v6
	v_sub_nc_u32_e32 v6, 29, v6
	v_lshlrev_b32_e32 v3, v7, v3
	v_cndmask_b32_e32 v6, v9, v6, vcc_lo
	v_and_b32_e32 v3, 7, v3
	v_cndmask_b32_e32 v3, v5, v3, vcc_lo
	v_lshl_add_u32 v5, v6, 23, 0x3b800000
	v_lshlrev_b32_e32 v3, 20, v3
	v_or3_b32 v3, v4, v5, v3
.LBB15_473:
	s_or_b32 exec_lo, exec_lo, s23
.LBB15_474:
	s_mov_b32 s1, -1
.LBB15_475:
	s_mov_b32 s23, 0
.LBB15_476:
	s_and_b32 vcc_lo, exec_lo, s23
	s_cbranch_vccz .LBB15_511
; %bb.477:
	s_cmp_gt_i32 s0, 22
	s_cbranch_scc0 .LBB15_487
; %bb.478:
	s_cmp_lt_i32 s0, 24
	s_cbranch_scc1 .LBB15_490
; %bb.479:
	s_cmp_gt_i32 s0, 24
	s_cbranch_scc0 .LBB15_491
; %bb.480:
	global_load_ubyte v4, v[1:2], off
	s_mov_b32 s1, 0
	s_mov_b32 s23, exec_lo
	s_waitcnt vmcnt(0)
	v_cmpx_lt_i16_e32 0x7f, v4
	s_xor_b32 s23, exec_lo, s23
	s_cbranch_execz .LBB15_503
; %bb.481:
	s_mov_b32 s1, -1
	s_mov_b32 s39, exec_lo
	v_cmpx_eq_u16_e32 0x80, v4
; %bb.482:
	s_xor_b32 s1, exec_lo, -1
; %bb.483:
	s_or_b32 exec_lo, exec_lo, s39
	s_and_b32 s1, s1, exec_lo
	s_or_saveexec_b32 s23, s23
	v_mov_b32_e32 v3, 0x7f800001
	s_xor_b32 exec_lo, exec_lo, s23
	s_cbranch_execnz .LBB15_504
.LBB15_484:
	s_or_b32 exec_lo, exec_lo, s23
	s_and_saveexec_b32 s23, s1
	s_cbranch_execz .LBB15_486
.LBB15_485:
	v_and_b32_e32 v3, 0xffff, v4
	v_lshlrev_b32_e32 v4, 24, v4
	v_and_b32_e32 v5, 3, v3
	v_bfe_u32 v9, v3, 2, 5
	v_and_b32_e32 v4, 0x80000000, v4
	v_ffbh_u32_e32 v6, v5
	v_cmp_eq_u32_e32 vcc_lo, 0, v9
	v_min_u32_e32 v6, 32, v6
	v_subrev_nc_u32_e32 v7, 29, v6
	v_sub_nc_u32_e32 v6, 30, v6
	v_lshlrev_b32_e32 v3, v7, v3
	v_cndmask_b32_e32 v6, v9, v6, vcc_lo
	v_and_b32_e32 v3, 3, v3
	v_cndmask_b32_e32 v3, v5, v3, vcc_lo
	v_lshl_add_u32 v5, v6, 23, 0x37800000
	v_lshlrev_b32_e32 v3, 21, v3
	v_or3_b32 v3, v4, v5, v3
.LBB15_486:
	s_or_b32 exec_lo, exec_lo, s23
	s_mov_b32 s1, 0
	s_branch .LBB15_492
.LBB15_487:
	s_mov_b32 s23, -1
                                        ; implicit-def: $vgpr3
	s_branch .LBB15_498
.LBB15_488:
	s_or_saveexec_b32 s23, s23
	v_mov_b32_e32 v3, 0x7f800001
	s_xor_b32 exec_lo, exec_lo, s23
	s_cbranch_execz .LBB15_471
.LBB15_489:
	v_cmp_ne_u16_e32 vcc_lo, 0, v4
	v_mov_b32_e32 v3, 0
	s_andn2_b32 s1, s1, exec_lo
	s_and_b32 s39, vcc_lo, exec_lo
	s_or_b32 s1, s1, s39
	s_or_b32 exec_lo, exec_lo, s23
	s_and_saveexec_b32 s23, s1
	s_cbranch_execnz .LBB15_472
	s_branch .LBB15_473
.LBB15_490:
	s_mov_b32 s1, -1
                                        ; implicit-def: $vgpr3
	s_branch .LBB15_495
.LBB15_491:
	s_mov_b32 s1, -1
                                        ; implicit-def: $vgpr3
.LBB15_492:
	s_and_b32 vcc_lo, exec_lo, s1
	s_cbranch_vccz .LBB15_494
; %bb.493:
	global_load_ubyte v3, v[1:2], off
	s_waitcnt vmcnt(0)
	v_lshlrev_b32_e32 v3, 24, v3
	v_and_b32_e32 v4, 0x7f000000, v3
	v_ffbh_u32_e32 v5, v4
	v_add_nc_u32_e32 v7, 0x1000000, v4
	v_cmp_ne_u32_e32 vcc_lo, 0, v4
	v_min_u32_e32 v5, 32, v5
	v_sub_nc_u32_e64 v5, v5, 4 clamp
	v_lshlrev_b32_e32 v6, v5, v4
	v_lshlrev_b32_e32 v5, 23, v5
	v_lshrrev_b32_e32 v6, 4, v6
	v_sub_nc_u32_e32 v5, v6, v5
	v_ashrrev_i32_e32 v6, 8, v7
	v_add_nc_u32_e32 v5, 0x3c000000, v5
	v_and_or_b32 v5, 0x7f800000, v6, v5
	v_cndmask_b32_e32 v4, 0, v5, vcc_lo
	v_and_or_b32 v3, 0x80000000, v3, v4
.LBB15_494:
	s_mov_b32 s1, 0
.LBB15_495:
	s_andn2_b32 vcc_lo, exec_lo, s1
	s_cbranch_vccnz .LBB15_497
; %bb.496:
	global_load_ubyte v3, v[1:2], off
	s_waitcnt vmcnt(0)
	v_lshlrev_b32_e32 v4, 25, v3
	v_lshlrev_b16 v3, 8, v3
	v_lshrrev_b32_e32 v5, 4, v4
	v_and_or_b32 v6, 0x7f00, v3, 0.5
	v_cmp_gt_u32_e32 vcc_lo, 0x8000000, v4
	v_bfe_i32 v3, v3, 0, 16
	v_or_b32_e32 v5, 0x70000000, v5
	v_add_f32_e32 v6, -0.5, v6
	v_mul_f32_e32 v5, 0x7800000, v5
	v_cndmask_b32_e32 v4, v5, v6, vcc_lo
	v_and_or_b32 v3, 0x80000000, v3, v4
.LBB15_497:
	s_mov_b32 s23, 0
	s_mov_b32 s1, -1
.LBB15_498:
	s_andn2_b32 vcc_lo, exec_lo, s23
	s_cbranch_vccnz .LBB15_511
; %bb.499:
	s_cmp_gt_i32 s0, 14
	s_cbranch_scc0 .LBB15_502
; %bb.500:
	s_cmp_eq_u32 s0, 15
	s_cbranch_scc0 .LBB15_505
; %bb.501:
	global_load_ushort v3, v[1:2], off
	s_mov_b32 s1, -1
	s_mov_b32 s22, 0
	s_waitcnt vmcnt(0)
	v_lshlrev_b32_e32 v3, 16, v3
	s_branch .LBB15_506
.LBB15_502:
	s_mov_b32 s23, -1
                                        ; implicit-def: $vgpr3
	s_branch .LBB15_507
.LBB15_503:
	s_or_saveexec_b32 s23, s23
	v_mov_b32_e32 v3, 0x7f800001
	s_xor_b32 exec_lo, exec_lo, s23
	s_cbranch_execz .LBB15_484
.LBB15_504:
	v_cmp_ne_u16_e32 vcc_lo, 0, v4
	v_mov_b32_e32 v3, 0
	s_andn2_b32 s1, s1, exec_lo
	s_and_b32 s39, vcc_lo, exec_lo
	s_or_b32 s1, s1, s39
	s_or_b32 exec_lo, exec_lo, s23
	s_and_saveexec_b32 s23, s1
	s_cbranch_execnz .LBB15_485
	s_branch .LBB15_486
.LBB15_505:
	s_mov_b32 s22, -1
                                        ; implicit-def: $vgpr3
.LBB15_506:
	s_mov_b32 s23, 0
.LBB15_507:
	s_and_b32 vcc_lo, exec_lo, s23
	s_cbranch_vccz .LBB15_511
; %bb.508:
	s_cmp_eq_u32 s0, 11
	s_cbranch_scc0 .LBB15_510
; %bb.509:
	global_load_ubyte v3, v[1:2], off
	s_mov_b32 s22, 0
	s_mov_b32 s1, -1
	s_waitcnt vmcnt(0)
	v_cmp_ne_u16_e32 vcc_lo, 0, v3
	v_cndmask_b32_e64 v3, 0, 1.0, vcc_lo
	s_branch .LBB15_511
.LBB15_510:
	s_mov_b32 s22, -1
                                        ; implicit-def: $vgpr3
.LBB15_511:
	s_branch .LBB15_303
.LBB15_512:
	s_cmp_lt_i32 s0, 5
	s_cbranch_scc1 .LBB15_517
; %bb.513:
	s_cmp_lt_i32 s0, 8
	s_cbranch_scc1 .LBB15_518
; %bb.514:
	;; [unrolled: 3-line block ×3, first 2 shown]
	s_cmp_gt_i32 s0, 9
	s_cbranch_scc0 .LBB15_520
; %bb.516:
	global_load_dwordx2 v[3:4], v[1:2], off
	s_mov_b32 s1, 0
	s_waitcnt vmcnt(0)
	v_cvt_f32_f64_e32 v3, v[3:4]
	s_branch .LBB15_521
.LBB15_517:
	s_mov_b32 s1, -1
                                        ; implicit-def: $vgpr3
	s_branch .LBB15_539
.LBB15_518:
	s_mov_b32 s1, -1
                                        ; implicit-def: $vgpr3
	s_branch .LBB15_527
.LBB15_519:
	s_mov_b32 s1, -1
                                        ; implicit-def: $vgpr3
	s_branch .LBB15_524
.LBB15_520:
	s_mov_b32 s1, -1
                                        ; implicit-def: $vgpr3
.LBB15_521:
	s_andn2_b32 vcc_lo, exec_lo, s1
	s_cbranch_vccnz .LBB15_523
; %bb.522:
	global_load_dword v3, v[1:2], off
.LBB15_523:
	s_mov_b32 s1, 0
.LBB15_524:
	s_andn2_b32 vcc_lo, exec_lo, s1
	s_cbranch_vccnz .LBB15_526
; %bb.525:
	global_load_dword v3, v[1:2], off
	s_waitcnt vmcnt(0)
	v_cvt_f32_f16_e32 v3, v3
.LBB15_526:
	s_mov_b32 s1, 0
.LBB15_527:
	s_andn2_b32 vcc_lo, exec_lo, s1
	s_cbranch_vccnz .LBB15_538
; %bb.528:
	s_cmp_lt_i32 s0, 6
	s_cbranch_scc1 .LBB15_531
; %bb.529:
	s_cmp_gt_i32 s0, 6
	s_cbranch_scc0 .LBB15_532
; %bb.530:
	global_load_dwordx2 v[3:4], v[1:2], off
	s_mov_b32 s1, 0
	s_waitcnt vmcnt(0)
	v_cvt_f32_f64_e32 v3, v[3:4]
	s_branch .LBB15_533
.LBB15_531:
	s_mov_b32 s1, -1
                                        ; implicit-def: $vgpr3
	s_branch .LBB15_536
.LBB15_532:
	s_mov_b32 s1, -1
                                        ; implicit-def: $vgpr3
.LBB15_533:
	s_andn2_b32 vcc_lo, exec_lo, s1
	s_cbranch_vccnz .LBB15_535
; %bb.534:
	global_load_dword v3, v[1:2], off
.LBB15_535:
	s_mov_b32 s1, 0
.LBB15_536:
	s_andn2_b32 vcc_lo, exec_lo, s1
	s_cbranch_vccnz .LBB15_538
; %bb.537:
	global_load_ushort v3, v[1:2], off
	s_waitcnt vmcnt(0)
	v_cvt_f32_f16_e32 v3, v3
.LBB15_538:
	s_mov_b32 s1, 0
.LBB15_539:
	s_andn2_b32 vcc_lo, exec_lo, s1
	s_cbranch_vccnz .LBB15_559
; %bb.540:
	s_cmp_lt_i32 s0, 2
	s_cbranch_scc1 .LBB15_544
; %bb.541:
	s_cmp_lt_i32 s0, 3
	s_cbranch_scc1 .LBB15_545
; %bb.542:
	s_cmp_gt_i32 s0, 3
	s_cbranch_scc0 .LBB15_546
; %bb.543:
	global_load_dwordx2 v[3:4], v[1:2], off
	s_mov_b32 s1, 0
	s_waitcnt vmcnt(0)
	v_xor_b32_e32 v5, v3, v4
	v_ffbh_i32_e32 v6, v4
	v_ashrrev_i32_e32 v5, 31, v5
	v_add_nc_u32_e32 v6, -1, v6
	v_add_nc_u32_e32 v5, 32, v5
	v_min_u32_e32 v5, v6, v5
	v_lshlrev_b64 v[3:4], v5, v[3:4]
	v_min_u32_e32 v3, 1, v3
	v_or_b32_e32 v3, v4, v3
	v_sub_nc_u32_e32 v4, 32, v5
	v_cvt_f32_i32_e32 v3, v3
	v_ldexp_f32 v3, v3, v4
	s_branch .LBB15_547
.LBB15_544:
	s_mov_b32 s1, -1
                                        ; implicit-def: $vgpr3
	s_branch .LBB15_553
.LBB15_545:
	s_mov_b32 s1, -1
                                        ; implicit-def: $vgpr3
	s_branch .LBB15_550
.LBB15_546:
	s_mov_b32 s1, -1
                                        ; implicit-def: $vgpr3
.LBB15_547:
	s_andn2_b32 vcc_lo, exec_lo, s1
	s_cbranch_vccnz .LBB15_549
; %bb.548:
	global_load_dword v3, v[1:2], off
	s_waitcnt vmcnt(0)
	v_cvt_f32_i32_e32 v3, v3
.LBB15_549:
	s_mov_b32 s1, 0
.LBB15_550:
	s_andn2_b32 vcc_lo, exec_lo, s1
	s_cbranch_vccnz .LBB15_552
; %bb.551:
	global_load_sshort v3, v[1:2], off
	s_waitcnt vmcnt(0)
	v_cvt_f32_i32_e32 v3, v3
.LBB15_552:
	s_mov_b32 s1, 0
.LBB15_553:
	s_andn2_b32 vcc_lo, exec_lo, s1
	s_cbranch_vccnz .LBB15_559
; %bb.554:
	s_cmp_gt_i32 s0, 0
	s_mov_b32 s0, 0
	s_cbranch_scc0 .LBB15_556
; %bb.555:
	global_load_sbyte v3, v[1:2], off
	s_waitcnt vmcnt(0)
	v_cvt_f32_i32_e32 v3, v3
	s_branch .LBB15_557
.LBB15_556:
	s_mov_b32 s0, -1
                                        ; implicit-def: $vgpr3
.LBB15_557:
	s_andn2_b32 vcc_lo, exec_lo, s0
	s_cbranch_vccnz .LBB15_559
; %bb.558:
	global_load_ubyte v1, v[1:2], off
	s_waitcnt vmcnt(0)
	v_cvt_f32_ubyte0_e32 v3, v1
.LBB15_559:
	s_branch .LBB15_304
.LBB15_560:
	s_mov_b32 s1, 0
	s_mov_b32 s0, s36
.LBB15_561:
                                        ; implicit-def: $vgpr8
.LBB15_562:
	s_andn2_b32 s23, s36, exec_lo
	s_and_b32 s0, s0, exec_lo
	s_andn2_b32 s39, s37, exec_lo
	s_and_b32 s22, s22, exec_lo
	s_or_b32 s40, s23, s0
	s_or_b32 s39, s39, s22
	s_orn2_b32 s0, s1, exec_lo
.LBB15_563:
	s_or_b32 exec_lo, exec_lo, s41
	s_mov_b32 s1, 0
	s_mov_b32 s23, 0
	;; [unrolled: 1-line block ×3, first 2 shown]
                                        ; implicit-def: $vgpr1_vgpr2
                                        ; implicit-def: $vgpr0
                                        ; implicit-def: $vgpr5
	s_and_saveexec_b32 s41, s0
	s_cbranch_execz .LBB15_950
; %bb.564:
	s_mov_b32 s44, -1
	s_mov_b32 s22, s39
	s_mov_b32 s23, s40
	s_mov_b32 s42, exec_lo
	v_cmpx_gt_i32_e64 s33, v8
	s_cbranch_execz .LBB15_849
; %bb.565:
	s_andn2_b32 vcc_lo, exec_lo, s27
	s_cbranch_vccnz .LBB15_570
; %bb.566:
	s_andn2_b32 vcc_lo, exec_lo, s34
	s_cbranch_vccnz .LBB15_571
; %bb.567:
	s_add_i32 s44, s35, 1
	s_cmp_eq_u32 s25, 2
	s_cbranch_scc1 .LBB15_572
; %bb.568:
	v_mov_b32_e32 v2, 0
	v_mov_b32_e32 v0, 0
	;; [unrolled: 1-line block ×3, first 2 shown]
	s_and_b32 s43, s44, 28
	s_mov_b32 s45, 0
	s_mov_b64 s[0:1], s[2:3]
	s_mov_b64 s[22:23], s[20:21]
.LBB15_569:                             ; =>This Inner Loop Header: Depth=1
	s_clause 0x1
	s_load_dwordx8 s[48:55], s[0:1], 0x4
	s_load_dwordx4 s[64:67], s[0:1], 0x24
	s_load_dwordx8 s[56:63], s[22:23], 0x0
	s_add_u32 s0, s0, 48
	s_addc_u32 s1, s1, 0
	s_add_i32 s45, s45, 4
	s_add_u32 s22, s22, 32
	s_addc_u32 s23, s23, 0
	s_cmp_eq_u32 s43, s45
	s_waitcnt vmcnt(0) lgkmcnt(0)
	v_mul_hi_u32 v3, s49, v1
	v_add_nc_u32_e32 v3, v1, v3
	v_lshrrev_b32_e32 v3, s50, v3
	v_mul_hi_u32 v4, s52, v3
	v_mul_lo_u32 v6, v3, s48
	v_add_nc_u32_e32 v4, v3, v4
	v_sub_nc_u32_e32 v1, v1, v6
	v_lshrrev_b32_e32 v4, s53, v4
	v_mul_lo_u32 v6, v1, s56
	v_mul_lo_u32 v9, v1, s57
	v_mul_hi_u32 v5, s55, v4
	v_add_nc_u32_e32 v5, v4, v5
	v_lshrrev_b32_e32 v5, s64, v5
	v_mul_hi_u32 v7, s66, v5
	v_mul_lo_u32 v10, v5, s54
	v_add_nc_u32_e32 v1, v5, v7
	v_mul_lo_u32 v7, v4, s51
	v_sub_nc_u32_e32 v4, v4, v10
	v_lshrrev_b32_e32 v1, s67, v1
	v_mul_lo_u32 v10, v4, s60
	v_mul_lo_u32 v4, v4, s61
	v_sub_nc_u32_e32 v3, v3, v7
	v_mul_lo_u32 v11, v1, s65
	v_mul_lo_u32 v7, v3, s58
	;; [unrolled: 1-line block ×3, first 2 shown]
	v_sub_nc_u32_e32 v5, v5, v11
	v_add3_u32 v0, v6, v0, v7
	v_mul_lo_u32 v11, v5, s62
	v_mul_lo_u32 v5, v5, s63
	v_add3_u32 v2, v9, v2, v3
	v_add3_u32 v0, v10, v0, v11
	;; [unrolled: 1-line block ×3, first 2 shown]
	s_cbranch_scc0 .LBB15_569
	s_branch .LBB15_573
.LBB15_570:
	s_mov_b32 s0, -1
                                        ; implicit-def: $vgpr0
                                        ; implicit-def: $vgpr2
	s_branch .LBB15_577
.LBB15_571:
	v_mov_b32_e32 v0, 0
	v_mov_b32_e32 v2, 0
	s_branch .LBB15_576
.LBB15_572:
	v_mov_b32_e32 v0, 0
	v_mov_b32_e32 v2, 0
	;; [unrolled: 1-line block ×3, first 2 shown]
	s_mov_b32 s43, 0
.LBB15_573:
	s_and_b32 s44, s44, 3
	s_cmp_eq_u32 s44, 0
	s_cbranch_scc1 .LBB15_576
; %bb.574:
	s_lshl_b32 s0, s43, 3
	s_mul_i32 s22, s43, 12
	s_add_u32 s0, s2, s0
	s_addc_u32 s1, s3, 0
	s_add_u32 s0, s0, 0xc4
	s_addc_u32 s1, s1, 0
	;; [unrolled: 2-line block ×3, first 2 shown]
	.p2align	6
.LBB15_575:                             ; =>This Inner Loop Header: Depth=1
	s_clause 0x1
	s_load_dwordx2 s[46:47], s[22:23], 0x4
	s_load_dword s43, s[22:23], 0xc
	s_load_dwordx2 s[48:49], s[0:1], 0x0
	s_add_u32 s22, s22, 12
	s_addc_u32 s23, s23, 0
	s_add_u32 s0, s0, 8
	s_addc_u32 s1, s1, 0
	s_add_i32 s44, s44, -1
	s_cmp_lg_u32 s44, 0
	s_waitcnt vmcnt(0) lgkmcnt(0)
	v_mul_hi_u32 v3, s47, v1
	v_add_nc_u32_e32 v3, v1, v3
	v_lshrrev_b32_e32 v4, s43, v3
	v_mul_lo_u32 v3, v4, s46
	v_sub_nc_u32_e32 v3, v1, v3
	v_mad_u64_u32 v[0:1], null, v3, s48, v[0:1]
	v_mad_u64_u32 v[2:3], null, v3, s49, v[2:3]
	v_mov_b32_e32 v1, v4
	s_cbranch_scc1 .LBB15_575
.LBB15_576:
	s_mov_b32 s0, 0
.LBB15_577:
	s_andn2_b32 vcc_lo, exec_lo, s0
	s_cbranch_vccnz .LBB15_580
; %bb.578:
	s_waitcnt lgkmcnt(0)
	v_mul_hi_u32 v0, s17, v8
	s_andn2_b32 vcc_lo, exec_lo, s31
	v_add_nc_u32_e32 v0, v8, v0
	v_lshrrev_b32_e32 v1, s18, v0
	v_mul_lo_u32 v0, v1, s16
	v_sub_nc_u32_e32 v2, v8, v0
	v_mul_lo_u32 v0, v2, s12
	v_mul_lo_u32 v2, v2, s13
	s_cbranch_vccnz .LBB15_580
; %bb.579:
	s_waitcnt vmcnt(0)
	v_mul_hi_u32 v3, s6, v1
	v_add_nc_u32_e32 v3, v1, v3
	v_lshrrev_b32_e32 v3, s7, v3
	v_mul_lo_u32 v3, v3, s19
	v_sub_nc_u32_e32 v3, v1, v3
	v_mad_u64_u32 v[0:1], null, v3, s14, v[0:1]
	v_mad_u64_u32 v[2:3], null, v3, s15, v[2:3]
.LBB15_580:
	s_waitcnt lgkmcnt(0)
	v_add_co_u32 v1, s0, s10, v2
	v_add_co_ci_u32_e64 v2, null, s11, 0, s0
	s_and_b32 s0, 0xffff, s30
	s_cmp_lt_i32 s0, 11
	s_cbranch_scc1 .LBB15_587
; %bb.581:
	s_cmp_gt_i32 s0, 25
	s_cbranch_scc0 .LBB15_588
; %bb.582:
	s_cmp_gt_i32 s0, 28
	s_cbranch_scc0 .LBB15_589
	;; [unrolled: 3-line block ×4, first 2 shown]
; %bb.585:
	s_cmp_eq_u32 s0, 46
	s_mov_b32 s23, 0
	s_cbranch_scc0 .LBB15_596
; %bb.586:
	global_load_dword v3, v[1:2], off
	s_mov_b32 s1, -1
	s_mov_b32 s22, 0
	s_waitcnt vmcnt(0)
	v_lshlrev_b32_e32 v3, 16, v3
	s_branch .LBB15_598
.LBB15_587:
	s_mov_b32 s23, -1
	s_mov_b32 s1, 0
	s_mov_b32 s22, s39
                                        ; implicit-def: $vgpr3
	s_branch .LBB15_663
.LBB15_588:
	s_mov_b32 s23, -1
	s_mov_b32 s1, 0
	s_mov_b32 s22, s39
                                        ; implicit-def: $vgpr3
	s_branch .LBB15_627
.LBB15_589:
	s_mov_b32 s23, -1
	s_mov_b32 s1, 0
	s_mov_b32 s22, s39
                                        ; implicit-def: $vgpr3
	s_branch .LBB15_608
.LBB15_590:
	s_mov_b32 s23, -1
	s_mov_b32 s1, 0
	s_mov_b32 s22, s39
                                        ; implicit-def: $vgpr3
	s_branch .LBB15_603
.LBB15_591:
	s_andn2_saveexec_b32 s42, s42
	s_cbranch_execz .LBB15_360
.LBB15_592:
	v_add_f32_e64 v0, 0x46000000, |v1|
	s_andn2_b32 s40, s40, exec_lo
	v_and_b32_e32 v0, 0xff, v0
	v_cmp_ne_u32_e32 vcc_lo, 0, v0
	s_and_b32 s43, vcc_lo, exec_lo
	s_or_b32 s40, s40, s43
	s_or_b32 exec_lo, exec_lo, s42
	v_mov_b32_e32 v2, 0
	s_and_saveexec_b32 s42, s40
	s_cbranch_execnz .LBB15_361
	s_branch .LBB15_362
.LBB15_593:
	s_mov_b32 s23, -1
	s_mov_b32 s1, 0
	s_mov_b32 s22, s39
	s_branch .LBB15_597
.LBB15_594:
	s_andn2_saveexec_b32 s42, s42
	s_cbranch_execz .LBB15_373
.LBB15_595:
	v_add_f32_e64 v0, 0x42800000, |v1|
	s_andn2_b32 s40, s40, exec_lo
	v_and_b32_e32 v0, 0xff, v0
	v_cmp_ne_u32_e32 vcc_lo, 0, v0
	s_and_b32 s43, vcc_lo, exec_lo
	s_or_b32 s40, s40, s43
	s_or_b32 exec_lo, exec_lo, s42
	v_mov_b32_e32 v2, 0
	s_and_saveexec_b32 s42, s40
	s_cbranch_execnz .LBB15_374
	s_branch .LBB15_375
.LBB15_596:
	s_mov_b32 s22, -1
	s_mov_b32 s1, 0
.LBB15_597:
                                        ; implicit-def: $vgpr3
.LBB15_598:
	s_and_b32 vcc_lo, exec_lo, s23
	s_cbranch_vccz .LBB15_602
; %bb.599:
	s_cmp_eq_u32 s0, 44
	s_cbranch_scc0 .LBB15_601
; %bb.600:
	global_load_ubyte v3, v[1:2], off
	s_mov_b32 s22, 0
	s_mov_b32 s1, -1
	s_waitcnt vmcnt(0)
	v_lshlrev_b32_e32 v4, 23, v3
	v_cmp_ne_u32_e32 vcc_lo, 0xff, v3
	v_cndmask_b32_e32 v4, 0x7f800001, v4, vcc_lo
	v_cmp_ne_u32_e32 vcc_lo, 0, v3
	v_cndmask_b32_e32 v3, 0x400000, v4, vcc_lo
	s_branch .LBB15_602
.LBB15_601:
	s_mov_b32 s22, -1
                                        ; implicit-def: $vgpr3
.LBB15_602:
	s_mov_b32 s23, 0
.LBB15_603:
	s_and_b32 vcc_lo, exec_lo, s23
	s_cbranch_vccz .LBB15_607
; %bb.604:
	s_cmp_eq_u32 s0, 29
	s_cbranch_scc0 .LBB15_606
; %bb.605:
	global_load_dwordx2 v[3:4], v[1:2], off
	s_mov_b32 s1, -1
	s_mov_b32 s22, 0
	s_mov_b32 s23, 0
	s_waitcnt vmcnt(0)
	v_ffbh_u32_e32 v5, v4
	v_min_u32_e32 v5, 32, v5
	v_lshlrev_b64 v[3:4], v5, v[3:4]
	v_min_u32_e32 v3, 1, v3
	v_or_b32_e32 v3, v4, v3
	v_sub_nc_u32_e32 v4, 32, v5
	v_cvt_f32_u32_e32 v3, v3
	v_ldexp_f32 v3, v3, v4
	s_branch .LBB15_608
.LBB15_606:
	s_mov_b32 s22, -1
                                        ; implicit-def: $vgpr3
.LBB15_607:
	s_mov_b32 s23, 0
.LBB15_608:
	s_and_b32 vcc_lo, exec_lo, s23
	s_cbranch_vccz .LBB15_626
; %bb.609:
	s_cmp_lt_i32 s0, 27
	s_cbranch_scc1 .LBB15_612
; %bb.610:
	s_cmp_gt_i32 s0, 27
	s_cbranch_scc0 .LBB15_613
; %bb.611:
	global_load_dword v3, v[1:2], off
	s_mov_b32 s1, 0
	s_waitcnt vmcnt(0)
	v_cvt_f32_u32_e32 v3, v3
	s_branch .LBB15_614
.LBB15_612:
	s_mov_b32 s1, -1
                                        ; implicit-def: $vgpr3
	s_branch .LBB15_617
.LBB15_613:
	s_mov_b32 s1, -1
                                        ; implicit-def: $vgpr3
.LBB15_614:
	s_andn2_b32 vcc_lo, exec_lo, s1
	s_cbranch_vccnz .LBB15_616
; %bb.615:
	global_load_ushort v3, v[1:2], off
	s_waitcnt vmcnt(0)
	v_cvt_f32_u32_e32 v3, v3
.LBB15_616:
	s_mov_b32 s1, 0
.LBB15_617:
	s_andn2_b32 vcc_lo, exec_lo, s1
	s_cbranch_vccnz .LBB15_625
; %bb.618:
	global_load_ubyte v4, v[1:2], off
	s_mov_b32 s1, 0
	s_mov_b32 s23, exec_lo
	s_waitcnt vmcnt(0)
	v_cmpx_lt_i16_e32 0x7f, v4
	s_xor_b32 s23, exec_lo, s23
	s_cbranch_execz .LBB15_639
; %bb.619:
	s_mov_b32 s1, -1
	s_mov_b32 s43, exec_lo
	v_cmpx_eq_u16_e32 0x80, v4
; %bb.620:
	s_xor_b32 s1, exec_lo, -1
; %bb.621:
	s_or_b32 exec_lo, exec_lo, s43
	s_and_b32 s1, s1, exec_lo
	s_or_saveexec_b32 s23, s23
	v_mov_b32_e32 v3, 0x7f800001
	s_xor_b32 exec_lo, exec_lo, s23
	s_cbranch_execnz .LBB15_640
.LBB15_622:
	s_or_b32 exec_lo, exec_lo, s23
	s_and_saveexec_b32 s23, s1
	s_cbranch_execz .LBB15_624
.LBB15_623:
	v_and_b32_e32 v3, 0xffff, v4
	v_lshlrev_b32_e32 v4, 24, v4
	v_and_b32_e32 v5, 7, v3
	v_bfe_u32 v9, v3, 3, 4
	v_and_b32_e32 v4, 0x80000000, v4
	v_ffbh_u32_e32 v6, v5
	v_cmp_eq_u32_e32 vcc_lo, 0, v9
	v_min_u32_e32 v6, 32, v6
	v_subrev_nc_u32_e32 v7, 28, v6
	v_sub_nc_u32_e32 v6, 29, v6
	v_lshlrev_b32_e32 v3, v7, v3
	v_cndmask_b32_e32 v6, v9, v6, vcc_lo
	v_and_b32_e32 v3, 7, v3
	v_cndmask_b32_e32 v3, v5, v3, vcc_lo
	v_lshl_add_u32 v5, v6, 23, 0x3b800000
	v_lshlrev_b32_e32 v3, 20, v3
	v_or3_b32 v3, v4, v5, v3
.LBB15_624:
	s_or_b32 exec_lo, exec_lo, s23
.LBB15_625:
	s_mov_b32 s1, -1
.LBB15_626:
	s_mov_b32 s23, 0
.LBB15_627:
	s_and_b32 vcc_lo, exec_lo, s23
	s_cbranch_vccz .LBB15_662
; %bb.628:
	s_cmp_gt_i32 s0, 22
	s_cbranch_scc0 .LBB15_638
; %bb.629:
	s_cmp_lt_i32 s0, 24
	s_cbranch_scc1 .LBB15_641
; %bb.630:
	s_cmp_gt_i32 s0, 24
	s_cbranch_scc0 .LBB15_642
; %bb.631:
	global_load_ubyte v4, v[1:2], off
	s_mov_b32 s1, 0
	s_mov_b32 s23, exec_lo
	s_waitcnt vmcnt(0)
	v_cmpx_lt_i16_e32 0x7f, v4
	s_xor_b32 s23, exec_lo, s23
	s_cbranch_execz .LBB15_654
; %bb.632:
	s_mov_b32 s1, -1
	s_mov_b32 s43, exec_lo
	v_cmpx_eq_u16_e32 0x80, v4
; %bb.633:
	s_xor_b32 s1, exec_lo, -1
; %bb.634:
	s_or_b32 exec_lo, exec_lo, s43
	s_and_b32 s1, s1, exec_lo
	s_or_saveexec_b32 s23, s23
	v_mov_b32_e32 v3, 0x7f800001
	s_xor_b32 exec_lo, exec_lo, s23
	s_cbranch_execnz .LBB15_655
.LBB15_635:
	s_or_b32 exec_lo, exec_lo, s23
	s_and_saveexec_b32 s23, s1
	s_cbranch_execz .LBB15_637
.LBB15_636:
	v_and_b32_e32 v3, 0xffff, v4
	v_lshlrev_b32_e32 v4, 24, v4
	v_and_b32_e32 v5, 3, v3
	v_bfe_u32 v9, v3, 2, 5
	v_and_b32_e32 v4, 0x80000000, v4
	v_ffbh_u32_e32 v6, v5
	v_cmp_eq_u32_e32 vcc_lo, 0, v9
	v_min_u32_e32 v6, 32, v6
	v_subrev_nc_u32_e32 v7, 29, v6
	v_sub_nc_u32_e32 v6, 30, v6
	v_lshlrev_b32_e32 v3, v7, v3
	v_cndmask_b32_e32 v6, v9, v6, vcc_lo
	v_and_b32_e32 v3, 3, v3
	v_cndmask_b32_e32 v3, v5, v3, vcc_lo
	v_lshl_add_u32 v5, v6, 23, 0x37800000
	v_lshlrev_b32_e32 v3, 21, v3
	v_or3_b32 v3, v4, v5, v3
.LBB15_637:
	s_or_b32 exec_lo, exec_lo, s23
	s_mov_b32 s1, 0
	s_branch .LBB15_643
.LBB15_638:
	s_mov_b32 s23, -1
                                        ; implicit-def: $vgpr3
	s_branch .LBB15_649
.LBB15_639:
	s_or_saveexec_b32 s23, s23
	v_mov_b32_e32 v3, 0x7f800001
	s_xor_b32 exec_lo, exec_lo, s23
	s_cbranch_execz .LBB15_622
.LBB15_640:
	v_cmp_ne_u16_e32 vcc_lo, 0, v4
	v_mov_b32_e32 v3, 0
	s_andn2_b32 s1, s1, exec_lo
	s_and_b32 s43, vcc_lo, exec_lo
	s_or_b32 s1, s1, s43
	s_or_b32 exec_lo, exec_lo, s23
	s_and_saveexec_b32 s23, s1
	s_cbranch_execnz .LBB15_623
	s_branch .LBB15_624
.LBB15_641:
	s_mov_b32 s1, -1
                                        ; implicit-def: $vgpr3
	s_branch .LBB15_646
.LBB15_642:
	s_mov_b32 s1, -1
                                        ; implicit-def: $vgpr3
.LBB15_643:
	s_and_b32 vcc_lo, exec_lo, s1
	s_cbranch_vccz .LBB15_645
; %bb.644:
	global_load_ubyte v3, v[1:2], off
	s_waitcnt vmcnt(0)
	v_lshlrev_b32_e32 v3, 24, v3
	v_and_b32_e32 v4, 0x7f000000, v3
	v_ffbh_u32_e32 v5, v4
	v_add_nc_u32_e32 v7, 0x1000000, v4
	v_cmp_ne_u32_e32 vcc_lo, 0, v4
	v_min_u32_e32 v5, 32, v5
	v_sub_nc_u32_e64 v5, v5, 4 clamp
	v_lshlrev_b32_e32 v6, v5, v4
	v_lshlrev_b32_e32 v5, 23, v5
	v_lshrrev_b32_e32 v6, 4, v6
	v_sub_nc_u32_e32 v5, v6, v5
	v_ashrrev_i32_e32 v6, 8, v7
	v_add_nc_u32_e32 v5, 0x3c000000, v5
	v_and_or_b32 v5, 0x7f800000, v6, v5
	v_cndmask_b32_e32 v4, 0, v5, vcc_lo
	v_and_or_b32 v3, 0x80000000, v3, v4
.LBB15_645:
	s_mov_b32 s1, 0
.LBB15_646:
	s_andn2_b32 vcc_lo, exec_lo, s1
	s_cbranch_vccnz .LBB15_648
; %bb.647:
	global_load_ubyte v3, v[1:2], off
	s_waitcnt vmcnt(0)
	v_lshlrev_b32_e32 v4, 25, v3
	v_lshlrev_b16 v3, 8, v3
	v_lshrrev_b32_e32 v5, 4, v4
	v_and_or_b32 v6, 0x7f00, v3, 0.5
	v_cmp_gt_u32_e32 vcc_lo, 0x8000000, v4
	v_bfe_i32 v3, v3, 0, 16
	v_or_b32_e32 v5, 0x70000000, v5
	v_add_f32_e32 v6, -0.5, v6
	v_mul_f32_e32 v5, 0x7800000, v5
	v_cndmask_b32_e32 v4, v5, v6, vcc_lo
	v_and_or_b32 v3, 0x80000000, v3, v4
.LBB15_648:
	s_mov_b32 s23, 0
	s_mov_b32 s1, -1
.LBB15_649:
	s_andn2_b32 vcc_lo, exec_lo, s23
	s_cbranch_vccnz .LBB15_662
; %bb.650:
	s_cmp_gt_i32 s0, 14
	s_cbranch_scc0 .LBB15_653
; %bb.651:
	s_cmp_eq_u32 s0, 15
	s_cbranch_scc0 .LBB15_656
; %bb.652:
	global_load_ushort v3, v[1:2], off
	s_mov_b32 s1, -1
	s_mov_b32 s22, 0
	s_waitcnt vmcnt(0)
	v_lshlrev_b32_e32 v3, 16, v3
	s_branch .LBB15_657
.LBB15_653:
	s_mov_b32 s23, -1
                                        ; implicit-def: $vgpr3
	s_branch .LBB15_658
.LBB15_654:
	s_or_saveexec_b32 s23, s23
	v_mov_b32_e32 v3, 0x7f800001
	s_xor_b32 exec_lo, exec_lo, s23
	s_cbranch_execz .LBB15_635
.LBB15_655:
	v_cmp_ne_u16_e32 vcc_lo, 0, v4
	v_mov_b32_e32 v3, 0
	s_andn2_b32 s1, s1, exec_lo
	s_and_b32 s43, vcc_lo, exec_lo
	s_or_b32 s1, s1, s43
	s_or_b32 exec_lo, exec_lo, s23
	s_and_saveexec_b32 s23, s1
	s_cbranch_execnz .LBB15_636
	s_branch .LBB15_637
.LBB15_656:
	s_mov_b32 s22, -1
                                        ; implicit-def: $vgpr3
.LBB15_657:
	s_mov_b32 s23, 0
.LBB15_658:
	s_and_b32 vcc_lo, exec_lo, s23
	s_cbranch_vccz .LBB15_662
; %bb.659:
	s_cmp_eq_u32 s0, 11
	s_cbranch_scc0 .LBB15_661
; %bb.660:
	global_load_ubyte v3, v[1:2], off
	s_mov_b32 s22, 0
	s_mov_b32 s1, -1
	s_waitcnt vmcnt(0)
	v_cmp_ne_u16_e32 vcc_lo, 0, v3
	v_cndmask_b32_e64 v3, 0, 1.0, vcc_lo
	s_branch .LBB15_662
.LBB15_661:
	s_mov_b32 s22, -1
                                        ; implicit-def: $vgpr3
.LBB15_662:
	s_mov_b32 s23, 0
.LBB15_663:
	s_and_b32 vcc_lo, exec_lo, s23
	s_cbranch_vccz .LBB15_712
; %bb.664:
	s_cmp_lt_i32 s0, 5
	s_cbranch_scc1 .LBB15_669
; %bb.665:
	s_cmp_lt_i32 s0, 8
	s_cbranch_scc1 .LBB15_670
	;; [unrolled: 3-line block ×3, first 2 shown]
; %bb.667:
	s_cmp_gt_i32 s0, 9
	s_cbranch_scc0 .LBB15_672
; %bb.668:
	global_load_dwordx2 v[3:4], v[1:2], off
	s_mov_b32 s1, 0
	s_waitcnt vmcnt(0)
	v_cvt_f32_f64_e32 v3, v[3:4]
	s_branch .LBB15_673
.LBB15_669:
	s_mov_b32 s1, -1
                                        ; implicit-def: $vgpr3
	s_branch .LBB15_691
.LBB15_670:
	s_mov_b32 s1, -1
                                        ; implicit-def: $vgpr3
	s_branch .LBB15_679
.LBB15_671:
	s_mov_b32 s1, -1
                                        ; implicit-def: $vgpr3
	s_branch .LBB15_676
.LBB15_672:
	s_mov_b32 s1, -1
                                        ; implicit-def: $vgpr3
.LBB15_673:
	s_andn2_b32 vcc_lo, exec_lo, s1
	s_cbranch_vccnz .LBB15_675
; %bb.674:
	global_load_dword v3, v[1:2], off
.LBB15_675:
	s_mov_b32 s1, 0
.LBB15_676:
	s_andn2_b32 vcc_lo, exec_lo, s1
	s_cbranch_vccnz .LBB15_678
; %bb.677:
	global_load_dword v3, v[1:2], off
	s_waitcnt vmcnt(0)
	v_cvt_f32_f16_e32 v3, v3
.LBB15_678:
	s_mov_b32 s1, 0
.LBB15_679:
	s_andn2_b32 vcc_lo, exec_lo, s1
	s_cbranch_vccnz .LBB15_690
; %bb.680:
	s_cmp_lt_i32 s0, 6
	s_cbranch_scc1 .LBB15_683
; %bb.681:
	s_cmp_gt_i32 s0, 6
	s_cbranch_scc0 .LBB15_684
; %bb.682:
	global_load_dwordx2 v[3:4], v[1:2], off
	s_mov_b32 s1, 0
	s_waitcnt vmcnt(0)
	v_cvt_f32_f64_e32 v3, v[3:4]
	s_branch .LBB15_685
.LBB15_683:
	s_mov_b32 s1, -1
                                        ; implicit-def: $vgpr3
	s_branch .LBB15_688
.LBB15_684:
	s_mov_b32 s1, -1
                                        ; implicit-def: $vgpr3
.LBB15_685:
	s_andn2_b32 vcc_lo, exec_lo, s1
	s_cbranch_vccnz .LBB15_687
; %bb.686:
	global_load_dword v3, v[1:2], off
.LBB15_687:
	s_mov_b32 s1, 0
.LBB15_688:
	s_andn2_b32 vcc_lo, exec_lo, s1
	s_cbranch_vccnz .LBB15_690
; %bb.689:
	global_load_ushort v3, v[1:2], off
	s_waitcnt vmcnt(0)
	v_cvt_f32_f16_e32 v3, v3
.LBB15_690:
	s_mov_b32 s1, 0
.LBB15_691:
	s_andn2_b32 vcc_lo, exec_lo, s1
	s_cbranch_vccnz .LBB15_711
; %bb.692:
	s_cmp_lt_i32 s0, 2
	s_cbranch_scc1 .LBB15_696
; %bb.693:
	s_cmp_lt_i32 s0, 3
	s_cbranch_scc1 .LBB15_697
; %bb.694:
	s_cmp_gt_i32 s0, 3
	s_cbranch_scc0 .LBB15_698
; %bb.695:
	global_load_dwordx2 v[3:4], v[1:2], off
	s_mov_b32 s1, 0
	s_waitcnt vmcnt(0)
	v_xor_b32_e32 v5, v3, v4
	v_ffbh_i32_e32 v6, v4
	v_ashrrev_i32_e32 v5, 31, v5
	v_add_nc_u32_e32 v6, -1, v6
	v_add_nc_u32_e32 v5, 32, v5
	v_min_u32_e32 v5, v6, v5
	v_lshlrev_b64 v[3:4], v5, v[3:4]
	v_min_u32_e32 v3, 1, v3
	v_or_b32_e32 v3, v4, v3
	v_sub_nc_u32_e32 v4, 32, v5
	v_cvt_f32_i32_e32 v3, v3
	v_ldexp_f32 v3, v3, v4
	s_branch .LBB15_699
.LBB15_696:
	s_mov_b32 s1, -1
                                        ; implicit-def: $vgpr3
	s_branch .LBB15_705
.LBB15_697:
	s_mov_b32 s1, -1
                                        ; implicit-def: $vgpr3
	s_branch .LBB15_702
.LBB15_698:
	s_mov_b32 s1, -1
                                        ; implicit-def: $vgpr3
.LBB15_699:
	s_andn2_b32 vcc_lo, exec_lo, s1
	s_cbranch_vccnz .LBB15_701
; %bb.700:
	global_load_dword v3, v[1:2], off
	s_waitcnt vmcnt(0)
	v_cvt_f32_i32_e32 v3, v3
.LBB15_701:
	s_mov_b32 s1, 0
.LBB15_702:
	s_andn2_b32 vcc_lo, exec_lo, s1
	s_cbranch_vccnz .LBB15_704
; %bb.703:
	global_load_sshort v3, v[1:2], off
	s_waitcnt vmcnt(0)
	v_cvt_f32_i32_e32 v3, v3
.LBB15_704:
	s_mov_b32 s1, 0
.LBB15_705:
	s_andn2_b32 vcc_lo, exec_lo, s1
	s_cbranch_vccnz .LBB15_711
; %bb.706:
	s_cmp_gt_i32 s0, 0
	s_mov_b32 s0, 0
	s_cbranch_scc0 .LBB15_708
; %bb.707:
	global_load_sbyte v3, v[1:2], off
	s_waitcnt vmcnt(0)
	v_cvt_f32_i32_e32 v3, v3
	s_branch .LBB15_709
.LBB15_708:
	s_mov_b32 s0, -1
                                        ; implicit-def: $vgpr3
.LBB15_709:
	s_andn2_b32 vcc_lo, exec_lo, s0
	s_cbranch_vccnz .LBB15_711
; %bb.710:
	global_load_ubyte v1, v[1:2], off
	s_waitcnt vmcnt(0)
	v_cvt_f32_ubyte0_e32 v3, v1
.LBB15_711:
	s_mov_b32 s1, -1
.LBB15_712:
	s_andn2_b32 vcc_lo, exec_lo, s1
	s_cbranch_vccnz .LBB15_730
; %bb.713:
	v_mov_b32_e32 v1, 0
	s_mov_b32 s23, exec_lo
	s_waitcnt vmcnt(0)
	v_cmpx_neq_f32_e64 0x7f800000, |v3|
	s_cbranch_execz .LBB15_723
; %bb.714:
                                        ; implicit-def: $vgpr1
	s_mov_b32 s1, exec_lo
	v_cmpx_nlt_f32_e64 |v3|, 0.5
	s_xor_b32 s43, exec_lo, s1
	s_cbranch_execz .LBB15_720
; %bb.715:
	v_and_b32_e32 v1, 0x7fffffff, v3
                                        ; implicit-def: $vgpr4
                                        ; implicit-def: $vgpr2
	s_mov_b32 s1, exec_lo
	v_cmpx_ngt_f32_e64 0x48000000, |v3|
	s_xor_b32 s44, exec_lo, s1
	s_cbranch_execz .LBB15_717
; %bb.716:
	s_mov_b32 s0, 0x7fffff
	v_mov_b32_e32 v6, 0
	v_and_or_b32 v2, v1, s0, 0x800000
	v_lshrrev_b32_e32 v7, 23, v1
	v_mad_u64_u32 v[4:5], null, 0xfe5163ab, v2, 0
	v_add_nc_u32_e32 v7, 0xffffff88, v7
	v_cmp_lt_u32_e32 vcc_lo, 63, v7
	v_mad_u64_u32 v[9:10], null, 0x3c439041, v2, v[5:6]
	v_cndmask_b32_e64 v14, 0, 0xffffffc0, vcc_lo
	v_mov_b32_e32 v5, v10
	v_add_nc_u32_e32 v7, v14, v7
	v_mad_u64_u32 v[10:11], null, 0xdb629599, v2, v[5:6]
	v_cmp_lt_u32_e64 s0, 31, v7
	v_cndmask_b32_e64 v15, 0, 0xffffffe0, s0
	v_mov_b32_e32 v5, v11
	v_cndmask_b32_e32 v4, v10, v4, vcc_lo
	v_add_nc_u32_e32 v7, v15, v7
	v_mad_u64_u32 v[11:12], null, 0xf534ddc0, v2, v[5:6]
	v_cmp_lt_u32_e64 s1, 31, v7
	v_mov_b32_e32 v5, v12
	v_mad_u64_u32 v[12:13], null, 0xfc2757d1, v2, v[5:6]
	v_mov_b32_e32 v5, v13
	v_mad_u64_u32 v[13:14], null, 0x4e441529, v2, v[5:6]
	v_mov_b32_e32 v5, v14
	v_cndmask_b32_e32 v14, v13, v11, vcc_lo
	v_mad_u64_u32 v[5:6], null, 0xa2f9836e, v2, v[5:6]
	v_cndmask_b32_e64 v2, 0, 0xffffffe0, s1
	v_add_nc_u32_e32 v2, v2, v7
	v_cndmask_b32_e32 v5, v5, v12, vcc_lo
	v_cndmask_b32_e32 v6, v6, v13, vcc_lo
	;; [unrolled: 1-line block ×4, first 2 shown]
	v_sub_nc_u32_e32 v11, 32, v2
	v_cndmask_b32_e64 v9, v5, v14, s0
	v_cndmask_b32_e64 v5, v6, v5, s0
	;; [unrolled: 1-line block ×4, first 2 shown]
	v_cmp_eq_u32_e32 vcc_lo, 0, v2
	v_cndmask_b32_e64 v4, v7, v4, s0
	v_cndmask_b32_e64 v5, v5, v9, s1
	;; [unrolled: 1-line block ×5, first 2 shown]
	v_alignbit_b32 v13, v5, v9, v11
	v_alignbit_b32 v10, v9, v6, v11
	;; [unrolled: 1-line block ×3, first 2 shown]
	v_cndmask_b32_e32 v2, v13, v5, vcc_lo
	v_cndmask_b32_e32 v5, v10, v9, vcc_lo
	;; [unrolled: 1-line block ×3, first 2 shown]
	v_bfe_u32 v7, v2, 29, 1
	v_alignbit_b32 v9, v2, v5, 30
	v_alignbit_b32 v5, v5, v6, 30
	;; [unrolled: 1-line block ×3, first 2 shown]
	v_sub_nc_u32_e32 v10, 0, v7
	v_xor_b32_e32 v9, v9, v10
	v_xor_b32_e32 v5, v5, v10
	;; [unrolled: 1-line block ×3, first 2 shown]
	v_lshrrev_b32_e32 v10, 29, v2
	v_ffbh_u32_e32 v11, v9
	v_min_u32_e32 v11, 32, v11
	v_sub_nc_u32_e32 v6, 31, v11
	v_lshlrev_b32_e32 v12, 23, v11
	v_alignbit_b32 v9, v9, v5, v6
	v_alignbit_b32 v4, v5, v4, v6
	v_lshlrev_b32_e32 v5, 31, v10
	v_alignbit_b32 v6, v9, v4, 9
	v_or_b32_e32 v10, 0.5, v5
	v_lshrrev_b32_e32 v9, 9, v9
	v_or_b32_e32 v5, 0x33000000, v5
	v_ffbh_u32_e32 v13, v6
	v_sub_nc_u32_e32 v10, v10, v12
	v_min_u32_e32 v12, 32, v13
	v_or_b32_e32 v9, v9, v10
	v_not_b32_e32 v10, v12
	v_mul_f32_e32 v13, 0x3fc90fda, v9
	v_add_lshl_u32 v11, v12, v11, 23
	v_alignbit_b32 v4, v6, v4, v10
	v_fma_f32 v6, 0x3fc90fda, v9, -v13
	v_sub_nc_u32_e32 v5, v5, v11
	v_lshrrev_b32_e32 v4, 9, v4
	v_fmamk_f32 v6, v9, 0x33a22168, v6
	v_or_b32_e32 v4, v5, v4
	v_fmac_f32_e32 v6, 0x3fc90fda, v4
	v_lshrrev_b32_e32 v4, 30, v2
	v_add_f32_e32 v2, v13, v6
	v_add_nc_u32_e32 v4, v7, v4
.LBB15_717:
	s_andn2_saveexec_b32 s0, s44
; %bb.718:
	v_mul_f32_e64 v2, 0x3f22f983, |v3|
	v_rndne_f32_e32 v4, v2
	v_fma_f32 v2, 0xbfc90fda, v4, |v3|
	v_fmamk_f32 v2, v4, 0xb3a22168, v2
	v_fmamk_f32 v2, v4, 0xa7c234c4, v2
	v_cvt_i32_f32_e32 v4, v4
; %bb.719:
	s_or_b32 exec_lo, exec_lo, s0
	v_mul_f32_e32 v5, v2, v2
	s_mov_b32 s0, 0xb94c1982
	s_mov_b32 s1, 0x37d75334
	v_and_b32_e32 v9, 1, v4
	v_lshlrev_b32_e32 v4, 30, v4
	v_fmaak_f32 v6, s0, v5, 0x3c0881c4
	v_fmaak_f32 v7, s1, v5, 0xbab64f3b
	v_xor_b32_e32 v1, v1, v3
	v_cmp_eq_u32_e32 vcc_lo, 0, v9
	v_and_b32_e32 v4, 0x80000000, v4
	v_fmaak_f32 v6, v5, v6, 0xbe2aaa9d
	v_fmaak_f32 v7, v5, v7, 0x3d2aabf7
	v_mul_f32_e32 v6, v5, v6
	v_fmaak_f32 v7, v5, v7, 0xbf000004
	v_fmac_f32_e32 v2, v2, v6
	v_fma_f32 v5, v5, v7, 1.0
	v_cndmask_b32_e32 v2, v5, v2, vcc_lo
	v_cmp_class_f32_e64 vcc_lo, v3, 0x1f8
	v_xor3_b32 v1, v1, v4, v2
	v_cndmask_b32_e32 v1, 0x7fc00000, v1, vcc_lo
	v_div_scale_f32 v2, null, v3, v3, v1
	v_rcp_f32_e32 v4, v2
	v_fma_f32 v5, -v2, v4, 1.0
	v_fmac_f32_e32 v4, v5, v4
	v_div_scale_f32 v5, vcc_lo, v1, v3, v1
	v_mul_f32_e32 v6, v5, v4
	v_fma_f32 v7, -v2, v6, v5
	v_fmac_f32_e32 v6, v7, v4
	v_fma_f32 v2, -v2, v6, v5
	v_div_fmas_f32 v2, v2, v4, v6
	v_div_fixup_f32 v1, v2, v3, v1
                                        ; implicit-def: $vgpr3
.LBB15_720:
	s_andn2_saveexec_b32 s0, s43
	s_cbranch_execz .LBB15_722
; %bb.721:
	v_mul_f32_e32 v1, v3, v3
	s_mov_b32 s1, 0x2f309231
	v_fmaak_f32 v2, s1, v1, 0xb2d7322b
	v_fmaak_f32 v2, v1, v2, 0x3638ef1d
	;; [unrolled: 1-line block ×5, first 2 shown]
	v_fma_f32 v1, v1, v2, 1.0
.LBB15_722:
	s_or_b32 exec_lo, exec_lo, s0
.LBB15_723:
	s_or_b32 exec_lo, exec_lo, s23
	v_add_co_u32 v3, s0, s8, v0
	v_add_co_ci_u32_e64 v4, null, s9, 0, s0
	s_and_b32 s1, s29, 0xff
	s_cmp_lt_i32 s1, 11
	s_cbranch_scc1 .LBB15_731
; %bb.724:
	s_and_b32 s23, 0xffff, s1
	s_cmp_gt_i32 s23, 25
	s_cbranch_scc0 .LBB15_732
; %bb.725:
	s_cmp_gt_i32 s23, 28
	s_cbranch_scc0 .LBB15_733
; %bb.726:
	;; [unrolled: 3-line block ×4, first 2 shown]
	s_mov_b32 s44, 0
	s_mov_b32 s0, -1
	s_cmp_eq_u32 s23, 46
	s_mov_b32 s43, 0
	s_cbranch_scc0 .LBB15_736
; %bb.729:
	v_bfe_u32 v0, v1, 16, 1
	v_cmp_o_f32_e32 vcc_lo, v1, v1
	v_mov_b32_e32 v2, 0x7fc0
	s_mov_b32 s43, -1
	s_mov_b32 s0, 0
	v_add3_u32 v0, v1, v0, 0x7fff
	v_cndmask_b32_sdwa v0, v2, v0, vcc_lo dst_sel:DWORD dst_unused:UNUSED_PAD src0_sel:DWORD src1_sel:WORD_1
	global_store_dword v[3:4], v0, off
	s_branch .LBB15_736
.LBB15_730:
	s_mov_b32 s1, 0
	s_mov_b32 s0, s40
	s_branch .LBB15_847
.LBB15_731:
	s_mov_b32 s23, -1
	s_mov_b32 s43, 0
	s_mov_b32 s0, s40
	s_branch .LBB15_805
.LBB15_732:
	s_mov_b32 s44, -1
	s_mov_b32 s43, 0
	s_mov_b32 s0, s40
	s_branch .LBB15_763
.LBB15_733:
	s_mov_b32 s44, -1
	s_mov_b32 s43, 0
	s_mov_b32 s0, s40
	s_branch .LBB15_746
.LBB15_734:
	s_mov_b32 s44, -1
	s_mov_b32 s43, 0
	s_mov_b32 s0, s40
	s_branch .LBB15_742
.LBB15_735:
	s_mov_b32 s44, -1
	s_mov_b32 s43, 0
	s_mov_b32 s0, s40
.LBB15_736:
	s_and_b32 vcc_lo, exec_lo, s44
	s_cbranch_vccz .LBB15_741
; %bb.737:
	s_cmp_eq_u32 s23, 44
	s_mov_b32 s0, -1
	s_cbranch_scc0 .LBB15_741
; %bb.738:
	v_bfe_u32 v2, v1, 23, 8
	v_mov_b32_e32 v0, 0xff
	s_mov_b32 s43, exec_lo
	v_cmpx_ne_u32_e32 0xff, v2
	s_cbranch_execz .LBB15_740
; %bb.739:
	v_and_b32_e32 v0, 0x400000, v1
	v_and_or_b32 v2, 0x3fffff, v1, v2
	v_cmp_ne_u32_e32 vcc_lo, 0, v0
	v_cmp_ne_u32_e64 s0, 0, v2
	v_lshrrev_b32_e32 v0, 23, v1
	s_and_b32 s0, vcc_lo, s0
	v_cndmask_b32_e64 v2, 0, 1, s0
	v_add_nc_u32_e32 v0, v0, v2
.LBB15_740:
	s_or_b32 exec_lo, exec_lo, s43
	s_mov_b32 s43, -1
	s_mov_b32 s0, 0
	global_store_byte v[3:4], v0, off
.LBB15_741:
	s_mov_b32 s44, 0
.LBB15_742:
	s_and_b32 vcc_lo, exec_lo, s44
	s_cbranch_vccz .LBB15_745
; %bb.743:
	s_cmp_eq_u32 s23, 29
	s_mov_b32 s0, -1
	s_cbranch_scc0 .LBB15_745
; %bb.744:
	v_trunc_f32_e32 v0, v1
	s_mov_b32 s43, -1
	s_mov_b32 s0, 0
	s_mov_b32 s44, 0
	v_mul_f32_e32 v2, 0x2f800000, v0
	v_floor_f32_e32 v2, v2
	v_fmamk_f32 v0, v2, 0xcf800000, v0
	v_cvt_u32_f32_e32 v6, v2
	v_cvt_u32_f32_e32 v5, v0
	global_store_dwordx2 v[3:4], v[5:6], off
	s_branch .LBB15_746
.LBB15_745:
	s_mov_b32 s44, 0
.LBB15_746:
	s_and_b32 vcc_lo, exec_lo, s44
	s_cbranch_vccz .LBB15_762
; %bb.747:
	s_cmp_lt_i32 s23, 27
	s_mov_b32 s43, -1
	s_cbranch_scc1 .LBB15_753
; %bb.748:
	v_cvt_u32_f32_e32 v0, v1
	s_cmp_gt_i32 s23, 27
	s_cbranch_scc0 .LBB15_750
; %bb.749:
	s_mov_b32 s43, 0
	global_store_dword v[3:4], v0, off
.LBB15_750:
	s_andn2_b32 vcc_lo, exec_lo, s43
	s_cbranch_vccnz .LBB15_752
; %bb.751:
	global_store_short v[3:4], v0, off
.LBB15_752:
	s_mov_b32 s43, 0
.LBB15_753:
	s_andn2_b32 vcc_lo, exec_lo, s43
	s_cbranch_vccnz .LBB15_761
; %bb.754:
	v_and_b32_e32 v0, 0x7fffffff, v1
	v_mov_b32_e32 v2, 0x80
	s_mov_b32 s43, exec_lo
	v_cmpx_gt_u32_e32 0x43800000, v0
	s_cbranch_execz .LBB15_760
; %bb.755:
	v_cmp_lt_u32_e32 vcc_lo, 0x3bffffff, v0
	s_mov_b32 s44, 0
                                        ; implicit-def: $vgpr0
	s_and_saveexec_b32 s45, vcc_lo
	s_xor_b32 s45, exec_lo, s45
	s_cbranch_execz .LBB15_877
; %bb.756:
	v_bfe_u32 v0, v1, 20, 1
	s_mov_b32 s44, exec_lo
	v_add3_u32 v0, v1, v0, 0x487ffff
	v_lshrrev_b32_e32 v0, 20, v0
	s_andn2_saveexec_b32 s45, s45
	s_cbranch_execnz .LBB15_878
.LBB15_757:
	s_or_b32 exec_lo, exec_lo, s45
	v_mov_b32_e32 v2, 0
	s_and_saveexec_b32 s45, s44
.LBB15_758:
	v_lshrrev_b32_e32 v2, 24, v1
	v_and_or_b32 v2, 0x80, v2, v0
.LBB15_759:
	s_or_b32 exec_lo, exec_lo, s45
.LBB15_760:
	s_or_b32 exec_lo, exec_lo, s43
	global_store_byte v[3:4], v2, off
.LBB15_761:
	s_mov_b32 s43, -1
.LBB15_762:
	s_mov_b32 s44, 0
.LBB15_763:
	s_and_b32 vcc_lo, exec_lo, s44
	s_cbranch_vccz .LBB15_804
; %bb.764:
	s_cmp_gt_i32 s23, 22
	s_mov_b32 s44, -1
	s_cbranch_scc0 .LBB15_796
; %bb.765:
	s_cmp_lt_i32 s23, 24
	s_mov_b32 s43, -1
	s_cbranch_scc1 .LBB15_785
; %bb.766:
	s_cmp_gt_i32 s23, 24
	s_cbranch_scc0 .LBB15_774
; %bb.767:
	v_and_b32_e32 v0, 0x7fffffff, v1
	v_mov_b32_e32 v2, 0x80
	s_mov_b32 s43, exec_lo
	v_cmpx_gt_u32_e32 0x47800000, v0
	s_cbranch_execz .LBB15_773
; %bb.768:
	v_cmp_lt_u32_e32 vcc_lo, 0x37ffffff, v0
	s_mov_b32 s44, 0
                                        ; implicit-def: $vgpr0
	s_and_saveexec_b32 s45, vcc_lo
	s_xor_b32 s45, exec_lo, s45
	s_cbranch_execz .LBB15_880
; %bb.769:
	v_bfe_u32 v0, v1, 21, 1
	s_mov_b32 s44, exec_lo
	v_add3_u32 v0, v1, v0, 0x88fffff
	v_lshrrev_b32_e32 v0, 21, v0
	s_andn2_saveexec_b32 s45, s45
	s_cbranch_execnz .LBB15_881
.LBB15_770:
	s_or_b32 exec_lo, exec_lo, s45
	v_mov_b32_e32 v2, 0
	s_and_saveexec_b32 s45, s44
.LBB15_771:
	v_lshrrev_b32_e32 v2, 24, v1
	v_and_or_b32 v2, 0x80, v2, v0
.LBB15_772:
	s_or_b32 exec_lo, exec_lo, s45
.LBB15_773:
	s_or_b32 exec_lo, exec_lo, s43
	s_mov_b32 s43, 0
	global_store_byte v[3:4], v2, off
.LBB15_774:
	s_and_b32 vcc_lo, exec_lo, s43
	s_cbranch_vccz .LBB15_784
; %bb.775:
	v_and_b32_e32 v2, 0x7fffffff, v1
	s_mov_b32 s43, exec_lo
                                        ; implicit-def: $vgpr0
	v_cmpx_gt_u32_e32 0x43f00000, v2
	s_xor_b32 s43, exec_lo, s43
	s_cbranch_execz .LBB15_781
; %bb.776:
	s_mov_b32 s44, exec_lo
                                        ; implicit-def: $vgpr0
	v_cmpx_lt_u32_e32 0x3c7fffff, v2
	s_xor_b32 s44, exec_lo, s44
; %bb.777:
	v_bfe_u32 v0, v1, 20, 1
	v_add3_u32 v0, v1, v0, 0x407ffff
	v_and_b32_e32 v2, 0xff00000, v0
	v_lshrrev_b32_e32 v0, 20, v0
	v_cmp_ne_u32_e32 vcc_lo, 0x7f00000, v2
	v_cndmask_b32_e32 v0, 0x7e, v0, vcc_lo
; %bb.778:
	s_andn2_saveexec_b32 s44, s44
; %bb.779:
	v_add_f32_e64 v0, 0x46800000, |v1|
; %bb.780:
	s_or_b32 exec_lo, exec_lo, s44
                                        ; implicit-def: $vgpr2
.LBB15_781:
	s_andn2_saveexec_b32 s43, s43
; %bb.782:
	v_mov_b32_e32 v0, 0x7f
	v_cmp_lt_u32_e32 vcc_lo, 0x7f800000, v2
	v_cndmask_b32_e32 v0, 0x7e, v0, vcc_lo
; %bb.783:
	s_or_b32 exec_lo, exec_lo, s43
	v_lshrrev_b32_e32 v2, 24, v1
	v_and_or_b32 v0, 0x80, v2, v0
	global_store_byte v[3:4], v0, off
.LBB15_784:
	s_mov_b32 s43, 0
.LBB15_785:
	s_andn2_b32 vcc_lo, exec_lo, s43
	s_cbranch_vccnz .LBB15_795
; %bb.786:
	v_and_b32_e32 v2, 0x7fffffff, v1
	s_mov_b32 s43, exec_lo
                                        ; implicit-def: $vgpr0
	v_cmpx_gt_u32_e32 0x47800000, v2
	s_xor_b32 s43, exec_lo, s43
	s_cbranch_execz .LBB15_792
; %bb.787:
	s_mov_b32 s44, exec_lo
                                        ; implicit-def: $vgpr0
	v_cmpx_lt_u32_e32 0x387fffff, v2
	s_xor_b32 s44, exec_lo, s44
; %bb.788:
	v_bfe_u32 v0, v1, 21, 1
	v_add3_u32 v0, v1, v0, 0x80fffff
	v_lshrrev_b32_e32 v0, 21, v0
; %bb.789:
	s_andn2_saveexec_b32 s44, s44
; %bb.790:
	v_add_f32_e64 v0, 0x43000000, |v1|
; %bb.791:
	s_or_b32 exec_lo, exec_lo, s44
                                        ; implicit-def: $vgpr2
.LBB15_792:
	s_andn2_saveexec_b32 s43, s43
; %bb.793:
	v_mov_b32_e32 v0, 0x7f
	v_cmp_lt_u32_e32 vcc_lo, 0x7f800000, v2
	v_cndmask_b32_e32 v0, 0x7c, v0, vcc_lo
; %bb.794:
	s_or_b32 exec_lo, exec_lo, s43
	v_lshrrev_b32_e32 v2, 24, v1
	v_and_or_b32 v0, 0x80, v2, v0
	global_store_byte v[3:4], v0, off
.LBB15_795:
	s_mov_b32 s44, 0
	s_mov_b32 s43, -1
.LBB15_796:
	s_andn2_b32 vcc_lo, exec_lo, s44
	s_cbranch_vccnz .LBB15_804
; %bb.797:
	s_cmp_gt_i32 s23, 14
	s_mov_b32 s44, -1
	s_cbranch_scc0 .LBB15_801
; %bb.798:
	s_cmp_eq_u32 s23, 15
	s_mov_b32 s0, -1
	s_cbranch_scc0 .LBB15_800
; %bb.799:
	v_bfe_u32 v0, v1, 16, 1
	v_cmp_o_f32_e32 vcc_lo, v1, v1
	v_mov_b32_e32 v2, 0x7fc0
	s_mov_b32 s43, -1
	s_mov_b32 s0, 0
	v_add3_u32 v0, v1, v0, 0x7fff
	v_cndmask_b32_sdwa v0, v2, v0, vcc_lo dst_sel:DWORD dst_unused:UNUSED_PAD src0_sel:DWORD src1_sel:WORD_1
	global_store_short v[3:4], v0, off
.LBB15_800:
	s_mov_b32 s44, 0
.LBB15_801:
	s_and_b32 vcc_lo, exec_lo, s44
	s_cbranch_vccz .LBB15_804
; %bb.802:
	s_cmp_eq_u32 s23, 11
	s_mov_b32 s0, -1
	s_cbranch_scc0 .LBB15_804
; %bb.803:
	v_cmp_neq_f32_e32 vcc_lo, 0, v1
	s_mov_b32 s0, 0
	s_mov_b32 s43, -1
	v_cndmask_b32_e64 v0, 0, 1, vcc_lo
	global_store_byte v[3:4], v0, off
.LBB15_804:
	s_mov_b32 s23, 0
.LBB15_805:
	s_and_b32 vcc_lo, exec_lo, s23
	s_cbranch_vccz .LBB15_844
; %bb.806:
	s_and_b32 s1, 0xffff, s1
	s_mov_b32 s23, -1
	s_cmp_lt_i32 s1, 5
	s_cbranch_scc1 .LBB15_827
; %bb.807:
	s_cmp_lt_i32 s1, 8
	s_cbranch_scc1 .LBB15_817
; %bb.808:
	;; [unrolled: 3-line block ×3, first 2 shown]
	s_cmp_gt_i32 s1, 9
	s_cbranch_scc0 .LBB15_811
; %bb.810:
	v_cvt_f64_f32_e32 v[9:10], v1
	v_mov_b32_e32 v11, 0
	s_mov_b32 s23, 0
	v_mov_b32_e32 v12, v11
	global_store_dwordx4 v[3:4], v[9:12], off
.LBB15_811:
	s_andn2_b32 vcc_lo, exec_lo, s23
	s_cbranch_vccnz .LBB15_813
; %bb.812:
	v_mov_b32_e32 v2, 0
	global_store_dwordx2 v[3:4], v[1:2], off
.LBB15_813:
	s_mov_b32 s23, 0
.LBB15_814:
	s_andn2_b32 vcc_lo, exec_lo, s23
	s_cbranch_vccnz .LBB15_816
; %bb.815:
	v_cvt_f16_f32_e32 v0, v1
	v_and_b32_e32 v0, 0xffff, v0
	global_store_dword v[3:4], v0, off
.LBB15_816:
	s_mov_b32 s23, 0
.LBB15_817:
	s_andn2_b32 vcc_lo, exec_lo, s23
	s_cbranch_vccnz .LBB15_826
; %bb.818:
	s_cmp_lt_i32 s1, 6
	s_mov_b32 s23, -1
	s_cbranch_scc1 .LBB15_824
; %bb.819:
	s_cmp_gt_i32 s1, 6
	s_cbranch_scc0 .LBB15_821
; %bb.820:
	v_cvt_f64_f32_e32 v[5:6], v1
	s_mov_b32 s23, 0
	global_store_dwordx2 v[3:4], v[5:6], off
.LBB15_821:
	s_andn2_b32 vcc_lo, exec_lo, s23
	s_cbranch_vccnz .LBB15_823
; %bb.822:
	global_store_dword v[3:4], v1, off
.LBB15_823:
	s_mov_b32 s23, 0
.LBB15_824:
	s_andn2_b32 vcc_lo, exec_lo, s23
	s_cbranch_vccnz .LBB15_826
; %bb.825:
	v_cvt_f16_f32_e32 v0, v1
	global_store_short v[3:4], v0, off
.LBB15_826:
	s_mov_b32 s23, 0
.LBB15_827:
	s_andn2_b32 vcc_lo, exec_lo, s23
	s_cbranch_vccnz .LBB15_843
; %bb.828:
	s_cmp_lt_i32 s1, 2
	s_mov_b32 s23, -1
	s_cbranch_scc1 .LBB15_838
; %bb.829:
	s_cmp_lt_i32 s1, 3
	s_cbranch_scc1 .LBB15_835
; %bb.830:
	s_cmp_gt_i32 s1, 3
	s_cbranch_scc0 .LBB15_832
; %bb.831:
	v_trunc_f32_e32 v0, v1
	s_mov_b32 s23, 0
	v_mul_f32_e64 v2, 0x2f800000, |v0|
	v_floor_f32_e32 v2, v2
	v_fma_f32 v5, 0xcf800000, v2, |v0|
	v_ashrrev_i32_e32 v0, 31, v0
	v_cvt_u32_f32_e32 v2, v2
	v_cvt_u32_f32_e32 v5, v5
	v_xor_b32_e32 v2, v2, v0
	v_xor_b32_e32 v5, v5, v0
	v_sub_co_u32 v5, vcc_lo, v5, v0
	v_sub_co_ci_u32_e64 v6, null, v2, v0, vcc_lo
	global_store_dwordx2 v[3:4], v[5:6], off
.LBB15_832:
	s_andn2_b32 vcc_lo, exec_lo, s23
	s_cbranch_vccnz .LBB15_834
; %bb.833:
	v_cvt_i32_f32_e32 v0, v1
	global_store_dword v[3:4], v0, off
.LBB15_834:
	s_mov_b32 s23, 0
.LBB15_835:
	s_andn2_b32 vcc_lo, exec_lo, s23
	s_cbranch_vccnz .LBB15_837
; %bb.836:
	v_cvt_i32_f32_e32 v0, v1
	global_store_short v[3:4], v0, off
.LBB15_837:
	s_mov_b32 s23, 0
.LBB15_838:
	s_andn2_b32 vcc_lo, exec_lo, s23
	s_cbranch_vccnz .LBB15_843
; %bb.839:
	s_cmp_gt_i32 s1, 0
	s_mov_b32 s1, -1
	s_cbranch_scc0 .LBB15_841
; %bb.840:
	v_cvt_i32_f32_e32 v0, v1
	s_mov_b32 s1, 0
	global_store_byte v[3:4], v0, off
.LBB15_841:
	s_andn2_b32 vcc_lo, exec_lo, s1
	s_cbranch_vccnz .LBB15_843
; %bb.842:
	v_trunc_f32_e32 v0, v1
	v_mul_f32_e64 v1, 0x2f800000, |v0|
	v_floor_f32_e32 v1, v1
	v_fma_f32 v1, 0xcf800000, v1, |v0|
	v_ashrrev_i32_e32 v0, 31, v0
	v_cvt_u32_f32_e32 v1, v1
	v_xor_b32_e32 v1, v1, v0
	v_sub_nc_u32_e32 v0, v1, v0
	global_store_byte v[3:4], v0, off
.LBB15_843:
	s_mov_b32 s43, -1
.LBB15_844:
	s_andn2_b32 vcc_lo, exec_lo, s43
	s_cbranch_vccnz .LBB15_846
; %bb.845:
	v_add_nc_u32_e32 v8, 0x80, v8
	s_mov_b32 s1, -1
	s_branch .LBB15_848
.LBB15_846:
	s_mov_b32 s1, 0
.LBB15_847:
                                        ; implicit-def: $vgpr8
.LBB15_848:
	s_andn2_b32 s23, s40, exec_lo
	s_and_b32 s0, s0, exec_lo
	s_andn2_b32 s43, s39, exec_lo
	s_and_b32 s22, s22, exec_lo
	s_or_b32 s23, s23, s0
	s_or_b32 s22, s43, s22
	s_orn2_b32 s44, s1, exec_lo
.LBB15_849:
	s_or_b32 exec_lo, exec_lo, s42
	s_mov_b32 s0, 0
	s_mov_b32 s1, 0
	;; [unrolled: 1-line block ×3, first 2 shown]
                                        ; implicit-def: $vgpr1_vgpr2
                                        ; implicit-def: $vgpr0
                                        ; implicit-def: $vgpr5
	s_and_saveexec_b32 s42, s44
	s_cbranch_execz .LBB15_949
; %bb.850:
	v_cmp_gt_i32_e32 vcc_lo, s33, v8
	s_mov_b32 s45, s22
	s_mov_b32 s44, 0
                                        ; implicit-def: $vgpr1_vgpr2
                                        ; implicit-def: $vgpr0
                                        ; implicit-def: $vgpr5
	s_and_saveexec_b32 s33, vcc_lo
	s_cbranch_execz .LBB15_948
; %bb.851:
	s_andn2_b32 vcc_lo, exec_lo, s27
	s_cbranch_vccnz .LBB15_856
; %bb.852:
	s_andn2_b32 vcc_lo, exec_lo, s34
	s_cbranch_vccnz .LBB15_857
; %bb.853:
	s_add_i32 s35, s35, 1
	s_cmp_eq_u32 s25, 2
	s_cbranch_scc1 .LBB15_858
; %bb.854:
	v_mov_b32_e32 v2, 0
	v_mov_b32_e32 v0, 0
	;; [unrolled: 1-line block ×3, first 2 shown]
	s_and_b32 s34, s35, 28
	s_mov_b64 s[0:1], s[2:3]
.LBB15_855:                             ; =>This Inner Loop Header: Depth=1
	s_clause 0x1
	s_load_dwordx8 s[44:51], s[0:1], 0x4
	s_load_dwordx4 s[60:63], s[0:1], 0x24
	s_load_dwordx8 s[52:59], s[20:21], 0x0
	s_add_u32 s0, s0, 48
	s_addc_u32 s1, s1, 0
	s_add_i32 s43, s43, 4
	s_add_u32 s20, s20, 32
	s_addc_u32 s21, s21, 0
	s_cmp_eq_u32 s34, s43
	s_waitcnt vmcnt(0) lgkmcnt(0)
	v_mul_hi_u32 v3, s45, v1
	v_add_nc_u32_e32 v3, v1, v3
	v_lshrrev_b32_e32 v3, s46, v3
	v_mul_hi_u32 v4, s48, v3
	v_mul_lo_u32 v6, v3, s44
	v_add_nc_u32_e32 v4, v3, v4
	v_sub_nc_u32_e32 v1, v1, v6
	v_lshrrev_b32_e32 v4, s49, v4
	v_mul_lo_u32 v6, v1, s52
	v_mul_lo_u32 v9, v1, s53
	v_mul_hi_u32 v5, s51, v4
	v_add_nc_u32_e32 v5, v4, v5
	v_lshrrev_b32_e32 v5, s60, v5
	v_mul_hi_u32 v7, s62, v5
	v_mul_lo_u32 v10, v5, s50
	v_add_nc_u32_e32 v1, v5, v7
	v_mul_lo_u32 v7, v4, s47
	v_sub_nc_u32_e32 v4, v4, v10
	v_lshrrev_b32_e32 v1, s63, v1
	v_mul_lo_u32 v10, v4, s56
	v_mul_lo_u32 v4, v4, s57
	v_sub_nc_u32_e32 v3, v3, v7
	v_mul_lo_u32 v11, v1, s61
	v_mul_lo_u32 v7, v3, s54
	;; [unrolled: 1-line block ×3, first 2 shown]
	v_sub_nc_u32_e32 v5, v5, v11
	v_add3_u32 v0, v6, v0, v7
	v_mul_lo_u32 v11, v5, s58
	v_mul_lo_u32 v5, v5, s59
	v_add3_u32 v2, v9, v2, v3
	v_add3_u32 v0, v10, v0, v11
	;; [unrolled: 1-line block ×3, first 2 shown]
	s_cbranch_scc0 .LBB15_855
	s_branch .LBB15_859
.LBB15_856:
	s_mov_b32 s0, -1
                                        ; implicit-def: $vgpr0
                                        ; implicit-def: $vgpr2
	s_branch .LBB15_863
.LBB15_857:
	v_mov_b32_e32 v0, 0
	v_mov_b32_e32 v2, 0
	s_branch .LBB15_862
.LBB15_858:
	v_mov_b32_e32 v0, 0
	v_mov_b32_e32 v2, 0
	v_mov_b32_e32 v1, v8
	s_mov_b32 s34, 0
.LBB15_859:
	s_and_b32 s35, s35, 3
	s_cmp_eq_u32 s35, 0
	s_cbranch_scc1 .LBB15_862
; %bb.860:
	s_lshl_b32 s0, s34, 3
	s_mul_i32 s20, s34, 12
	s_add_u32 s0, s2, s0
	s_addc_u32 s1, s3, 0
	s_add_u32 s0, s0, 0xc4
	s_addc_u32 s1, s1, 0
	;; [unrolled: 2-line block ×3, first 2 shown]
.LBB15_861:                             ; =>This Inner Loop Header: Depth=1
	s_clause 0x1
	s_load_dwordx2 s[44:45], s[20:21], 0x4
	s_load_dword s34, s[20:21], 0xc
	s_load_dwordx2 s[46:47], s[0:1], 0x0
	s_add_u32 s20, s20, 12
	s_addc_u32 s21, s21, 0
	s_add_u32 s0, s0, 8
	s_addc_u32 s1, s1, 0
	s_add_i32 s35, s35, -1
	s_cmp_lg_u32 s35, 0
	s_waitcnt vmcnt(0) lgkmcnt(0)
	v_mul_hi_u32 v3, s45, v1
	v_add_nc_u32_e32 v3, v1, v3
	v_lshrrev_b32_e32 v4, s34, v3
	v_mul_lo_u32 v3, v4, s44
	v_sub_nc_u32_e32 v3, v1, v3
	v_mad_u64_u32 v[0:1], null, v3, s46, v[0:1]
	v_mad_u64_u32 v[2:3], null, v3, s47, v[2:3]
	v_mov_b32_e32 v1, v4
	s_cbranch_scc1 .LBB15_861
.LBB15_862:
	s_mov_b32 s0, 0
.LBB15_863:
	s_andn2_b32 vcc_lo, exec_lo, s0
	s_cbranch_vccnz .LBB15_866
; %bb.864:
	s_waitcnt lgkmcnt(0)
	v_mul_hi_u32 v0, s17, v8
	s_andn2_b32 vcc_lo, exec_lo, s31
	v_add_nc_u32_e32 v0, v8, v0
	v_lshrrev_b32_e32 v1, s18, v0
	v_mul_lo_u32 v0, v1, s16
	v_sub_nc_u32_e32 v2, v8, v0
	v_mul_lo_u32 v0, v2, s12
	v_mul_lo_u32 v2, v2, s13
	s_cbranch_vccnz .LBB15_866
; %bb.865:
	s_waitcnt vmcnt(0)
	v_mul_hi_u32 v3, s6, v1
	v_add_nc_u32_e32 v3, v1, v3
	v_lshrrev_b32_e32 v3, s7, v3
	v_mul_lo_u32 v3, v3, s19
	v_sub_nc_u32_e32 v3, v1, v3
	v_mad_u64_u32 v[0:1], null, v3, s14, v[0:1]
	v_mad_u64_u32 v[2:3], null, v3, s15, v[2:3]
.LBB15_866:
	s_waitcnt lgkmcnt(0)
	v_add_co_u32 v1, s0, s10, v2
	v_add_co_ci_u32_e64 v2, null, s11, 0, s0
	s_and_b32 s0, 0xffff, s30
	s_cmp_lt_i32 s0, 11
	s_cbranch_scc1 .LBB15_873
; %bb.867:
	s_cmp_gt_i32 s0, 25
	s_mov_b32 s6, 0
	s_cbranch_scc0 .LBB15_874
; %bb.868:
	s_cmp_gt_i32 s0, 28
	s_cbranch_scc0 .LBB15_875
; %bb.869:
	s_cmp_gt_i32 s0, 43
	;; [unrolled: 3-line block ×3, first 2 shown]
	s_cbranch_scc0 .LBB15_879
; %bb.871:
	s_cmp_eq_u32 s0, 46
	s_mov_b32 s10, 0
	s_cbranch_scc0 .LBB15_882
; %bb.872:
	global_load_dword v3, v[1:2], off
	s_mov_b32 s1, 0
	s_mov_b32 s7, -1
	s_waitcnt vmcnt(0)
	v_lshlrev_b32_e32 v5, 16, v3
	s_branch .LBB15_884
.LBB15_873:
	s_mov_b32 s0, -1
	s_mov_b32 s7, 0
	s_mov_b32 s6, 0
	;; [unrolled: 1-line block ×3, first 2 shown]
                                        ; implicit-def: $vgpr5
	s_branch .LBB15_947
.LBB15_874:
	s_mov_b32 s10, -1
	s_mov_b32 s7, 0
	s_mov_b32 s1, s22
                                        ; implicit-def: $vgpr5
	s_branch .LBB15_913
.LBB15_875:
	s_mov_b32 s10, -1
	s_mov_b32 s7, 0
	s_mov_b32 s1, s22
                                        ; implicit-def: $vgpr5
	s_branch .LBB15_894
.LBB15_876:
	s_mov_b32 s10, -1
	s_mov_b32 s7, 0
	s_mov_b32 s1, s22
                                        ; implicit-def: $vgpr5
	s_branch .LBB15_889
.LBB15_877:
	s_andn2_saveexec_b32 s45, s45
	s_cbranch_execz .LBB15_757
.LBB15_878:
	v_add_f32_e64 v0, 0x46000000, |v1|
	s_andn2_b32 s44, s44, exec_lo
	v_and_b32_e32 v0, 0xff, v0
	v_cmp_ne_u32_e32 vcc_lo, 0, v0
	s_and_b32 s46, vcc_lo, exec_lo
	s_or_b32 s44, s44, s46
	s_or_b32 exec_lo, exec_lo, s45
	v_mov_b32_e32 v2, 0
	s_and_saveexec_b32 s45, s44
	s_cbranch_execnz .LBB15_758
	s_branch .LBB15_759
.LBB15_879:
	s_mov_b32 s10, -1
	s_mov_b32 s7, 0
	s_mov_b32 s1, s22
	s_branch .LBB15_883
.LBB15_880:
	s_andn2_saveexec_b32 s45, s45
	s_cbranch_execz .LBB15_770
.LBB15_881:
	v_add_f32_e64 v0, 0x42800000, |v1|
	s_andn2_b32 s44, s44, exec_lo
	v_and_b32_e32 v0, 0xff, v0
	v_cmp_ne_u32_e32 vcc_lo, 0, v0
	s_and_b32 s46, vcc_lo, exec_lo
	s_or_b32 s44, s44, s46
	s_or_b32 exec_lo, exec_lo, s45
	v_mov_b32_e32 v2, 0
	s_and_saveexec_b32 s45, s44
	s_cbranch_execnz .LBB15_771
	s_branch .LBB15_772
.LBB15_882:
	s_mov_b32 s1, -1
	s_mov_b32 s7, 0
.LBB15_883:
                                        ; implicit-def: $vgpr5
.LBB15_884:
	s_and_b32 vcc_lo, exec_lo, s10
	s_cbranch_vccz .LBB15_888
; %bb.885:
	s_cmp_eq_u32 s0, 44
	s_cbranch_scc0 .LBB15_887
; %bb.886:
	global_load_ubyte v3, v[1:2], off
	s_mov_b32 s1, 0
	s_mov_b32 s7, -1
	s_waitcnt vmcnt(0)
	v_lshlrev_b32_e32 v4, 23, v3
	v_cmp_ne_u32_e32 vcc_lo, 0xff, v3
	v_cndmask_b32_e32 v4, 0x7f800001, v4, vcc_lo
	v_cmp_ne_u32_e32 vcc_lo, 0, v3
	v_cndmask_b32_e32 v5, 0x400000, v4, vcc_lo
	s_branch .LBB15_888
.LBB15_887:
	s_mov_b32 s1, -1
                                        ; implicit-def: $vgpr5
.LBB15_888:
	s_mov_b32 s10, 0
.LBB15_889:
	s_and_b32 vcc_lo, exec_lo, s10
	s_cbranch_vccz .LBB15_893
; %bb.890:
	s_cmp_eq_u32 s0, 29
	s_cbranch_scc0 .LBB15_892
; %bb.891:
	global_load_dwordx2 v[3:4], v[1:2], off
	s_mov_b32 s1, 0
	s_mov_b32 s7, -1
	s_mov_b32 s10, 0
	s_waitcnt vmcnt(0)
	v_ffbh_u32_e32 v5, v4
	v_min_u32_e32 v5, 32, v5
	v_lshlrev_b64 v[3:4], v5, v[3:4]
	v_min_u32_e32 v3, 1, v3
	v_or_b32_e32 v3, v4, v3
	v_sub_nc_u32_e32 v4, 32, v5
	v_cvt_f32_u32_e32 v3, v3
	v_ldexp_f32 v5, v3, v4
	s_branch .LBB15_894
.LBB15_892:
	s_mov_b32 s1, -1
                                        ; implicit-def: $vgpr5
.LBB15_893:
	s_mov_b32 s10, 0
.LBB15_894:
	s_and_b32 vcc_lo, exec_lo, s10
	s_cbranch_vccz .LBB15_912
; %bb.895:
	s_cmp_lt_i32 s0, 27
	s_cbranch_scc1 .LBB15_898
; %bb.896:
	s_cmp_gt_i32 s0, 27
	s_cbranch_scc0 .LBB15_899
; %bb.897:
	global_load_dword v3, v[1:2], off
	s_mov_b32 s7, 0
	s_waitcnt vmcnt(0)
	v_cvt_f32_u32_e32 v5, v3
	s_branch .LBB15_900
.LBB15_898:
	s_mov_b32 s7, -1
                                        ; implicit-def: $vgpr5
	s_branch .LBB15_903
.LBB15_899:
	s_mov_b32 s7, -1
                                        ; implicit-def: $vgpr5
.LBB15_900:
	s_andn2_b32 vcc_lo, exec_lo, s7
	s_cbranch_vccnz .LBB15_902
; %bb.901:
	global_load_ushort v3, v[1:2], off
	s_waitcnt vmcnt(0)
	v_cvt_f32_u32_e32 v5, v3
.LBB15_902:
	s_mov_b32 s7, 0
.LBB15_903:
	s_andn2_b32 vcc_lo, exec_lo, s7
	s_cbranch_vccnz .LBB15_911
; %bb.904:
	global_load_ubyte v3, v[1:2], off
	s_mov_b32 s7, 0
	s_mov_b32 s10, exec_lo
	s_waitcnt vmcnt(0)
	v_cmpx_lt_i16_e32 0x7f, v3
	s_xor_b32 s10, exec_lo, s10
	s_cbranch_execz .LBB15_925
; %bb.905:
	s_mov_b32 s7, -1
	s_mov_b32 s11, exec_lo
	v_cmpx_eq_u16_e32 0x80, v3
; %bb.906:
	s_xor_b32 s7, exec_lo, -1
; %bb.907:
	s_or_b32 exec_lo, exec_lo, s11
	s_and_b32 s7, s7, exec_lo
	s_or_saveexec_b32 s10, s10
	v_mov_b32_e32 v5, 0x7f800001
	s_xor_b32 exec_lo, exec_lo, s10
	s_cbranch_execnz .LBB15_926
.LBB15_908:
	s_or_b32 exec_lo, exec_lo, s10
	s_and_saveexec_b32 s10, s7
	s_cbranch_execz .LBB15_910
.LBB15_909:
	v_and_b32_e32 v4, 0xffff, v3
	v_lshlrev_b32_e32 v3, 24, v3
	v_and_b32_e32 v5, 7, v4
	v_bfe_u32 v8, v4, 3, 4
	v_and_b32_e32 v3, 0x80000000, v3
	v_ffbh_u32_e32 v6, v5
	v_cmp_eq_u32_e32 vcc_lo, 0, v8
	v_min_u32_e32 v6, 32, v6
	v_subrev_nc_u32_e32 v7, 28, v6
	v_sub_nc_u32_e32 v6, 29, v6
	v_lshlrev_b32_e32 v4, v7, v4
	v_cndmask_b32_e32 v6, v8, v6, vcc_lo
	v_and_b32_e32 v4, 7, v4
	v_cndmask_b32_e32 v4, v5, v4, vcc_lo
	v_lshl_add_u32 v5, v6, 23, 0x3b800000
	v_lshlrev_b32_e32 v4, 20, v4
	v_or3_b32 v5, v3, v5, v4
.LBB15_910:
	s_or_b32 exec_lo, exec_lo, s10
.LBB15_911:
	s_mov_b32 s7, -1
.LBB15_912:
	s_mov_b32 s10, 0
.LBB15_913:
	s_and_b32 vcc_lo, exec_lo, s10
	s_cbranch_vccz .LBB15_946
; %bb.914:
	s_cmp_gt_i32 s0, 22
	s_cbranch_scc0 .LBB15_924
; %bb.915:
	s_cmp_lt_i32 s0, 24
	s_cbranch_scc1 .LBB15_927
; %bb.916:
	s_cmp_gt_i32 s0, 24
	s_cbranch_scc0 .LBB15_928
; %bb.917:
	global_load_ubyte v3, v[1:2], off
	s_mov_b32 s7, exec_lo
	s_waitcnt vmcnt(0)
	v_cmpx_lt_i16_e32 0x7f, v3
	s_xor_b32 s7, exec_lo, s7
	s_cbranch_execz .LBB15_940
; %bb.918:
	s_mov_b32 s6, -1
	s_mov_b32 s10, exec_lo
	v_cmpx_eq_u16_e32 0x80, v3
; %bb.919:
	s_xor_b32 s6, exec_lo, -1
; %bb.920:
	s_or_b32 exec_lo, exec_lo, s10
	s_and_b32 s6, s6, exec_lo
	s_or_saveexec_b32 s7, s7
	v_mov_b32_e32 v5, 0x7f800001
	s_xor_b32 exec_lo, exec_lo, s7
	s_cbranch_execnz .LBB15_941
.LBB15_921:
	s_or_b32 exec_lo, exec_lo, s7
	s_and_saveexec_b32 s7, s6
	s_cbranch_execz .LBB15_923
.LBB15_922:
	v_and_b32_e32 v4, 0xffff, v3
	v_lshlrev_b32_e32 v3, 24, v3
	v_and_b32_e32 v5, 3, v4
	v_bfe_u32 v8, v4, 2, 5
	v_and_b32_e32 v3, 0x80000000, v3
	v_ffbh_u32_e32 v6, v5
	v_cmp_eq_u32_e32 vcc_lo, 0, v8
	v_min_u32_e32 v6, 32, v6
	v_subrev_nc_u32_e32 v7, 29, v6
	v_sub_nc_u32_e32 v6, 30, v6
	v_lshlrev_b32_e32 v4, v7, v4
	v_cndmask_b32_e32 v6, v8, v6, vcc_lo
	v_and_b32_e32 v4, 3, v4
	v_cndmask_b32_e32 v4, v5, v4, vcc_lo
	v_lshl_add_u32 v5, v6, 23, 0x37800000
	v_lshlrev_b32_e32 v4, 21, v4
	v_or3_b32 v5, v3, v5, v4
.LBB15_923:
	s_or_b32 exec_lo, exec_lo, s7
	s_mov_b32 s6, 0
	s_branch .LBB15_929
.LBB15_924:
	s_mov_b32 s6, -1
                                        ; implicit-def: $vgpr5
	s_branch .LBB15_935
.LBB15_925:
	s_or_saveexec_b32 s10, s10
	v_mov_b32_e32 v5, 0x7f800001
	s_xor_b32 exec_lo, exec_lo, s10
	s_cbranch_execz .LBB15_908
.LBB15_926:
	v_cmp_ne_u16_e32 vcc_lo, 0, v3
	v_mov_b32_e32 v5, 0
	s_andn2_b32 s7, s7, exec_lo
	s_and_b32 s11, vcc_lo, exec_lo
	s_or_b32 s7, s7, s11
	s_or_b32 exec_lo, exec_lo, s10
	s_and_saveexec_b32 s10, s7
	s_cbranch_execnz .LBB15_909
	s_branch .LBB15_910
.LBB15_927:
	s_mov_b32 s6, -1
                                        ; implicit-def: $vgpr5
	s_branch .LBB15_932
.LBB15_928:
	s_mov_b32 s6, -1
                                        ; implicit-def: $vgpr5
.LBB15_929:
	s_and_b32 vcc_lo, exec_lo, s6
	s_cbranch_vccz .LBB15_931
; %bb.930:
	global_load_ubyte v3, v[1:2], off
	s_waitcnt vmcnt(0)
	v_lshlrev_b32_e32 v3, 24, v3
	v_and_b32_e32 v4, 0x7f000000, v3
	v_ffbh_u32_e32 v5, v4
	v_add_nc_u32_e32 v7, 0x1000000, v4
	v_cmp_ne_u32_e32 vcc_lo, 0, v4
	v_min_u32_e32 v5, 32, v5
	v_sub_nc_u32_e64 v5, v5, 4 clamp
	v_lshlrev_b32_e32 v6, v5, v4
	v_lshlrev_b32_e32 v5, 23, v5
	v_lshrrev_b32_e32 v6, 4, v6
	v_sub_nc_u32_e32 v5, v6, v5
	v_ashrrev_i32_e32 v6, 8, v7
	v_add_nc_u32_e32 v5, 0x3c000000, v5
	v_and_or_b32 v5, 0x7f800000, v6, v5
	v_cndmask_b32_e32 v4, 0, v5, vcc_lo
	v_and_or_b32 v5, 0x80000000, v3, v4
.LBB15_931:
	s_mov_b32 s6, 0
.LBB15_932:
	s_andn2_b32 vcc_lo, exec_lo, s6
	s_cbranch_vccnz .LBB15_934
; %bb.933:
	global_load_ubyte v3, v[1:2], off
	s_waitcnt vmcnt(0)
	v_lshlrev_b32_e32 v4, 25, v3
	v_lshlrev_b16 v3, 8, v3
	v_lshrrev_b32_e32 v5, 4, v4
	v_and_or_b32 v6, 0x7f00, v3, 0.5
	v_cmp_gt_u32_e32 vcc_lo, 0x8000000, v4
	v_bfe_i32 v3, v3, 0, 16
	v_or_b32_e32 v5, 0x70000000, v5
	v_add_f32_e32 v6, -0.5, v6
	v_mul_f32_e32 v5, 0x7800000, v5
	v_cndmask_b32_e32 v4, v5, v6, vcc_lo
	v_and_or_b32 v5, 0x80000000, v3, v4
.LBB15_934:
	s_mov_b32 s6, 0
	s_mov_b32 s7, -1
.LBB15_935:
	s_andn2_b32 vcc_lo, exec_lo, s6
	s_mov_b32 s6, 0
	s_cbranch_vccnz .LBB15_946
; %bb.936:
	s_cmp_gt_i32 s0, 14
	s_cbranch_scc0 .LBB15_939
; %bb.937:
	s_cmp_eq_u32 s0, 15
	s_cbranch_scc0 .LBB15_942
; %bb.938:
	global_load_ushort v3, v[1:2], off
	s_mov_b32 s1, 0
	s_mov_b32 s7, -1
	s_waitcnt vmcnt(0)
	v_lshlrev_b32_e32 v5, 16, v3
	s_branch .LBB15_944
.LBB15_939:
	s_mov_b32 s6, -1
	s_branch .LBB15_943
.LBB15_940:
	s_or_saveexec_b32 s7, s7
	v_mov_b32_e32 v5, 0x7f800001
	s_xor_b32 exec_lo, exec_lo, s7
	s_cbranch_execz .LBB15_921
.LBB15_941:
	v_cmp_ne_u16_e32 vcc_lo, 0, v3
	v_mov_b32_e32 v5, 0
	s_andn2_b32 s6, s6, exec_lo
	s_and_b32 s10, vcc_lo, exec_lo
	s_or_b32 s6, s6, s10
	s_or_b32 exec_lo, exec_lo, s7
	s_and_saveexec_b32 s7, s6
	s_cbranch_execnz .LBB15_922
	s_branch .LBB15_923
.LBB15_942:
	s_mov_b32 s1, -1
.LBB15_943:
                                        ; implicit-def: $vgpr5
.LBB15_944:
	s_and_b32 vcc_lo, exec_lo, s6
	s_mov_b32 s6, 0
	s_cbranch_vccz .LBB15_946
; %bb.945:
	s_cmp_lg_u32 s0, 11
	s_mov_b32 s6, -1
	s_cselect_b32 s0, -1, 0
	s_andn2_b32 s1, s1, exec_lo
	s_and_b32 s0, s0, exec_lo
	s_or_b32 s1, s1, s0
.LBB15_946:
	s_mov_b32 s0, 0
.LBB15_947:
	s_and_b32 s43, s7, exec_lo
	s_andn2_b32 s7, s22, exec_lo
	s_and_b32 s1, s1, exec_lo
	s_and_b32 s44, s0, exec_lo
	s_and_b32 s0, s6, exec_lo
	s_or_b32 s45, s7, s1
.LBB15_948:
	s_or_b32 exec_lo, exec_lo, s33
	s_waitcnt lgkmcnt(0)
	s_andn2_b32 s6, s22, exec_lo
	s_and_b32 s7, s45, exec_lo
	s_and_b32 s43, s43, exec_lo
	;; [unrolled: 1-line block ×4, first 2 shown]
	s_or_b32 s22, s6, s7
.LBB15_949:
	s_or_b32 exec_lo, exec_lo, s42
	s_waitcnt lgkmcnt(0)
	s_andn2_b32 s6, s40, exec_lo
	s_and_b32 s7, s23, exec_lo
	s_and_b32 s42, s43, exec_lo
	s_or_b32 s40, s6, s7
	s_andn2_b32 s6, s39, exec_lo
	s_and_b32 s7, s22, exec_lo
	s_and_b32 s23, s1, exec_lo
	;; [unrolled: 1-line block ×3, first 2 shown]
	s_or_b32 s39, s6, s7
.LBB15_950:
	s_or_b32 exec_lo, exec_lo, s41
	s_andn2_b32 s0, s36, exec_lo
	s_waitcnt lgkmcnt(0)
	s_and_b32 s6, s40, exec_lo
	s_and_b32 s7, s39, exec_lo
	s_or_b32 s36, s0, s6
	s_andn2_b32 s6, s37, exec_lo
	s_and_b32 s0, s42, exec_lo
	s_and_b32 s22, s23, exec_lo
	;; [unrolled: 1-line block ×3, first 2 shown]
	s_or_b32 s37, s6, s7
	s_or_b32 exec_lo, exec_lo, s38
	s_mov_b32 s6, 0
	s_and_saveexec_b32 s1, s37
	s_cbranch_execz .LBB15_284
.LBB15_951:
	s_mov_b32 s6, exec_lo
	s_andn2_b32 s39, s39, exec_lo
	s_trap 2
	s_or_b32 exec_lo, exec_lo, s1
	s_and_saveexec_b32 s1, s39
	s_xor_b32 s1, exec_lo, s1
	s_cbranch_execnz .LBB15_285
.LBB15_952:
	s_or_b32 exec_lo, exec_lo, s1
	s_and_saveexec_b32 s1, s22
	s_cbranch_execz .LBB15_998
.LBB15_953:
	s_sext_i32_i16 s7, s30
	s_cmp_lt_i32 s7, 5
	s_cbranch_scc1 .LBB15_958
; %bb.954:
	s_cmp_lt_i32 s7, 8
	s_cbranch_scc1 .LBB15_959
; %bb.955:
	;; [unrolled: 3-line block ×3, first 2 shown]
	s_cmp_gt_i32 s7, 9
	s_cbranch_scc0 .LBB15_961
; %bb.957:
	global_load_dwordx2 v[3:4], v[1:2], off
	s_mov_b32 s7, 0
	s_waitcnt vmcnt(0)
	v_cvt_f32_f64_e32 v5, v[3:4]
	s_branch .LBB15_962
.LBB15_958:
                                        ; implicit-def: $vgpr5
	s_branch .LBB15_979
.LBB15_959:
                                        ; implicit-def: $vgpr5
	s_branch .LBB15_968
.LBB15_960:
	s_mov_b32 s7, -1
                                        ; implicit-def: $vgpr5
	s_branch .LBB15_965
.LBB15_961:
	s_mov_b32 s7, -1
                                        ; implicit-def: $vgpr5
.LBB15_962:
	s_andn2_b32 vcc_lo, exec_lo, s7
	s_cbranch_vccnz .LBB15_964
; %bb.963:
	global_load_dword v5, v[1:2], off
.LBB15_964:
	s_mov_b32 s7, 0
.LBB15_965:
	s_andn2_b32 vcc_lo, exec_lo, s7
	s_cbranch_vccnz .LBB15_967
; %bb.966:
	global_load_dword v3, v[1:2], off
	s_waitcnt vmcnt(0)
	v_cvt_f32_f16_e32 v5, v3
.LBB15_967:
	s_cbranch_execnz .LBB15_978
.LBB15_968:
	s_sext_i32_i16 s7, s30
	s_cmp_lt_i32 s7, 6
	s_cbranch_scc1 .LBB15_971
; %bb.969:
	s_cmp_gt_i32 s7, 6
	s_cbranch_scc0 .LBB15_972
; %bb.970:
	global_load_dwordx2 v[3:4], v[1:2], off
	s_mov_b32 s7, 0
	s_waitcnt vmcnt(0)
	v_cvt_f32_f64_e32 v5, v[3:4]
	s_branch .LBB15_973
.LBB15_971:
	s_mov_b32 s7, -1
                                        ; implicit-def: $vgpr5
	s_branch .LBB15_976
.LBB15_972:
	s_mov_b32 s7, -1
                                        ; implicit-def: $vgpr5
.LBB15_973:
	s_andn2_b32 vcc_lo, exec_lo, s7
	s_cbranch_vccnz .LBB15_975
; %bb.974:
	global_load_dword v5, v[1:2], off
.LBB15_975:
	s_mov_b32 s7, 0
.LBB15_976:
	s_andn2_b32 vcc_lo, exec_lo, s7
	s_cbranch_vccnz .LBB15_978
; %bb.977:
	global_load_ushort v3, v[1:2], off
	s_waitcnt vmcnt(0)
	v_cvt_f32_f16_e32 v5, v3
.LBB15_978:
	s_cbranch_execnz .LBB15_997
.LBB15_979:
	s_sext_i32_i16 s7, s30
	s_cmp_lt_i32 s7, 2
	s_cbranch_scc1 .LBB15_983
; %bb.980:
	s_cmp_lt_i32 s7, 3
	s_cbranch_scc1 .LBB15_984
; %bb.981:
	s_cmp_gt_i32 s7, 3
	s_cbranch_scc0 .LBB15_985
; %bb.982:
	global_load_dwordx2 v[3:4], v[1:2], off
	s_mov_b32 s7, 0
	s_waitcnt vmcnt(0)
	v_xor_b32_e32 v5, v3, v4
	v_ffbh_i32_e32 v6, v4
	v_ashrrev_i32_e32 v5, 31, v5
	v_add_nc_u32_e32 v6, -1, v6
	v_add_nc_u32_e32 v5, 32, v5
	v_min_u32_e32 v5, v6, v5
	v_lshlrev_b64 v[3:4], v5, v[3:4]
	v_min_u32_e32 v3, 1, v3
	v_or_b32_e32 v3, v4, v3
	v_sub_nc_u32_e32 v4, 32, v5
	v_cvt_f32_i32_e32 v3, v3
	v_ldexp_f32 v5, v3, v4
	s_branch .LBB15_986
.LBB15_983:
                                        ; implicit-def: $vgpr5
	s_branch .LBB15_992
.LBB15_984:
	s_mov_b32 s7, -1
                                        ; implicit-def: $vgpr5
	s_branch .LBB15_989
.LBB15_985:
	s_mov_b32 s7, -1
                                        ; implicit-def: $vgpr5
.LBB15_986:
	s_andn2_b32 vcc_lo, exec_lo, s7
	s_cbranch_vccnz .LBB15_988
; %bb.987:
	global_load_dword v3, v[1:2], off
	s_waitcnt vmcnt(0)
	v_cvt_f32_i32_e32 v5, v3
.LBB15_988:
	s_mov_b32 s7, 0
.LBB15_989:
	s_andn2_b32 vcc_lo, exec_lo, s7
	s_cbranch_vccnz .LBB15_991
; %bb.990:
	global_load_sshort v3, v[1:2], off
	s_waitcnt vmcnt(0)
	v_cvt_f32_i32_e32 v5, v3
.LBB15_991:
	s_cbranch_execnz .LBB15_997
.LBB15_992:
	s_sext_i32_i16 s7, s30
	s_cmp_gt_i32 s7, 0
	s_mov_b32 s7, 0
	s_cbranch_scc0 .LBB15_994
; %bb.993:
	global_load_sbyte v3, v[1:2], off
	s_waitcnt vmcnt(0)
	v_cvt_f32_i32_e32 v5, v3
	s_branch .LBB15_995
.LBB15_994:
	s_mov_b32 s7, -1
                                        ; implicit-def: $vgpr5
.LBB15_995:
	s_andn2_b32 vcc_lo, exec_lo, s7
	s_cbranch_vccnz .LBB15_997
; %bb.996:
	global_load_ubyte v1, v[1:2], off
	s_waitcnt vmcnt(0)
	v_cvt_f32_ubyte0_e32 v5, v1
.LBB15_997:
	s_or_b32 s0, s0, exec_lo
.LBB15_998:
	s_or_b32 exec_lo, exec_lo, s1
	s_mov_b32 s11, 0
	s_mov_b32 s10, 0
                                        ; implicit-def: $sgpr1
                                        ; implicit-def: $vgpr3_vgpr4
                                        ; implicit-def: $vgpr1
	s_and_saveexec_b32 s7, s0
	s_cbranch_execz .LBB15_1016
; %bb.999:
	v_mov_b32_e32 v1, 0
	s_mov_b32 s10, exec_lo
	s_waitcnt vmcnt(0)
	v_cmpx_neq_f32_e64 0x7f800000, |v5|
	s_cbranch_execz .LBB15_1009
; %bb.1000:
                                        ; implicit-def: $vgpr1
	s_mov_b32 s1, exec_lo
	v_cmpx_nlt_f32_e64 |v5|, 0.5
	s_xor_b32 s11, exec_lo, s1
	s_cbranch_execz .LBB15_1006
; %bb.1001:
	v_and_b32_e32 v1, 0x7fffffff, v5
                                        ; implicit-def: $vgpr3
                                        ; implicit-def: $vgpr2
	s_mov_b32 s1, exec_lo
	v_cmpx_ngt_f32_e64 0x48000000, |v5|
	s_xor_b32 s12, exec_lo, s1
	s_cbranch_execz .LBB15_1003
; %bb.1002:
	s_mov_b32 s0, 0x7fffff
	v_mov_b32_e32 v4, 0
	v_and_or_b32 v12, v1, s0, 0x800000
	v_lshrrev_b32_e32 v10, 23, v1
	v_mad_u64_u32 v[2:3], null, 0xfe5163ab, v12, 0
	v_add_nc_u32_e32 v11, 0xffffff88, v10
	v_cmp_lt_u32_e32 vcc_lo, 63, v11
	v_mad_u64_u32 v[6:7], null, 0x3c439041, v12, v[3:4]
	v_cndmask_b32_e64 v13, 0, 0xffffffc0, vcc_lo
	v_mov_b32_e32 v3, v7
	v_add_nc_u32_e32 v13, v13, v11
	v_mad_u64_u32 v[7:8], null, 0xdb629599, v12, v[3:4]
	v_cmp_lt_u32_e64 s0, 31, v13
	v_cndmask_b32_e64 v14, 0, 0xffffffe0, s0
	v_mov_b32_e32 v3, v8
	v_cndmask_b32_e32 v2, v7, v2, vcc_lo
	v_mad_u64_u32 v[8:9], null, 0xf534ddc0, v12, v[3:4]
	v_mov_b32_e32 v3, v9
	v_cndmask_b32_e32 v6, v8, v6, vcc_lo
	v_mad_u64_u32 v[9:10], null, 0xfc2757d1, v12, v[3:4]
	v_cndmask_b32_e64 v2, v6, v2, s0
	v_mov_b32_e32 v3, v10
	v_mad_u64_u32 v[10:11], null, 0x4e441529, v12, v[3:4]
	v_mov_b32_e32 v3, v11
	v_add_nc_u32_e32 v11, v14, v13
	v_cndmask_b32_e32 v13, v10, v8, vcc_lo
	v_mad_u64_u32 v[3:4], null, 0xa2f9836e, v12, v[3:4]
	v_cmp_lt_u32_e64 s1, 31, v11
	v_cndmask_b32_e64 v12, 0, 0xffffffe0, s1
	v_cndmask_b32_e32 v3, v3, v9, vcc_lo
	v_cndmask_b32_e32 v4, v4, v10, vcc_lo
	;; [unrolled: 1-line block ×3, first 2 shown]
	v_add_nc_u32_e32 v10, v12, v11
	v_cndmask_b32_e64 v8, v3, v13, s0
	v_cndmask_b32_e64 v3, v4, v3, s0
	;; [unrolled: 1-line block ×4, first 2 shown]
	v_sub_nc_u32_e32 v11, 32, v10
	v_cmp_eq_u32_e32 vcc_lo, 0, v10
	v_cndmask_b32_e64 v3, v3, v8, s1
	v_cndmask_b32_e64 v8, v8, v4, s1
	;; [unrolled: 1-line block ×4, first 2 shown]
	v_alignbit_b32 v12, v3, v8, v11
	v_alignbit_b32 v7, v8, v4, v11
	;; [unrolled: 1-line block ×3, first 2 shown]
	v_cndmask_b32_e32 v3, v12, v3, vcc_lo
	v_cndmask_b32_e32 v6, v7, v8, vcc_lo
	;; [unrolled: 1-line block ×3, first 2 shown]
	v_bfe_u32 v7, v3, 29, 1
	v_alignbit_b32 v8, v3, v6, 30
	v_alignbit_b32 v6, v6, v4, 30
	;; [unrolled: 1-line block ×3, first 2 shown]
	v_sub_nc_u32_e32 v9, 0, v7
	v_xor_b32_e32 v8, v8, v9
	v_xor_b32_e32 v4, v6, v9
	;; [unrolled: 1-line block ×3, first 2 shown]
	v_lshrrev_b32_e32 v9, 29, v3
	v_lshrrev_b32_e32 v3, 30, v3
	v_ffbh_u32_e32 v10, v8
	v_add_nc_u32_e32 v3, v7, v3
	v_min_u32_e32 v10, 32, v10
	v_sub_nc_u32_e32 v6, 31, v10
	v_lshlrev_b32_e32 v11, 23, v10
	v_alignbit_b32 v8, v8, v4, v6
	v_alignbit_b32 v2, v4, v2, v6
	v_lshlrev_b32_e32 v4, 31, v9
	v_alignbit_b32 v6, v8, v2, 9
	v_or_b32_e32 v9, 0.5, v4
	v_lshrrev_b32_e32 v8, 9, v8
	v_or_b32_e32 v4, 0x33000000, v4
	v_ffbh_u32_e32 v12, v6
	v_sub_nc_u32_e32 v9, v9, v11
	v_min_u32_e32 v11, 32, v12
	v_or_b32_e32 v8, v8, v9
	v_not_b32_e32 v9, v11
	v_mul_f32_e32 v12, 0x3fc90fda, v8
	v_add_lshl_u32 v10, v11, v10, 23
	v_alignbit_b32 v2, v6, v2, v9
	v_fma_f32 v6, 0x3fc90fda, v8, -v12
	v_sub_nc_u32_e32 v4, v4, v10
	v_lshrrev_b32_e32 v2, 9, v2
	v_fmamk_f32 v6, v8, 0x33a22168, v6
	v_or_b32_e32 v2, v4, v2
	v_fmac_f32_e32 v6, 0x3fc90fda, v2
	v_add_f32_e32 v2, v12, v6
.LBB15_1003:
	s_andn2_saveexec_b32 s0, s12
; %bb.1004:
	v_mul_f32_e64 v2, 0x3f22f983, |v5|
	v_rndne_f32_e32 v3, v2
	v_fma_f32 v2, 0xbfc90fda, v3, |v5|
	v_fmamk_f32 v2, v3, 0xb3a22168, v2
	v_fmamk_f32 v2, v3, 0xa7c234c4, v2
	v_cvt_i32_f32_e32 v3, v3
; %bb.1005:
	s_or_b32 exec_lo, exec_lo, s0
	v_mul_f32_e32 v4, v2, v2
	s_mov_b32 s0, 0xb94c1982
	s_mov_b32 s1, 0x37d75334
	v_and_b32_e32 v8, 1, v3
	v_lshlrev_b32_e32 v3, 30, v3
	v_fmaak_f32 v6, s0, v4, 0x3c0881c4
	v_fmaak_f32 v7, s1, v4, 0xbab64f3b
	v_xor_b32_e32 v1, v1, v5
	v_cmp_eq_u32_e32 vcc_lo, 0, v8
	v_and_b32_e32 v3, 0x80000000, v3
	v_fmaak_f32 v6, v4, v6, 0xbe2aaa9d
	v_fmaak_f32 v7, v4, v7, 0x3d2aabf7
	v_mul_f32_e32 v6, v4, v6
	v_fmaak_f32 v7, v4, v7, 0xbf000004
	v_fmac_f32_e32 v2, v2, v6
	v_fma_f32 v4, v4, v7, 1.0
	v_cndmask_b32_e32 v2, v4, v2, vcc_lo
	v_cmp_class_f32_e64 vcc_lo, v5, 0x1f8
	v_xor3_b32 v1, v1, v3, v2
	v_cndmask_b32_e32 v1, 0x7fc00000, v1, vcc_lo
	v_div_scale_f32 v2, null, v5, v5, v1
	v_rcp_f32_e32 v3, v2
	v_fma_f32 v4, -v2, v3, 1.0
	v_fmac_f32_e32 v3, v4, v3
	v_div_scale_f32 v4, vcc_lo, v1, v5, v1
	v_mul_f32_e32 v6, v4, v3
	v_fma_f32 v7, -v2, v6, v4
	v_fmac_f32_e32 v6, v7, v3
	v_fma_f32 v2, -v2, v6, v4
	v_div_fmas_f32 v2, v2, v3, v6
	v_div_fixup_f32 v1, v2, v5, v1
                                        ; implicit-def: $vgpr5
.LBB15_1006:
	s_andn2_saveexec_b32 s0, s11
	s_cbranch_execz .LBB15_1008
; %bb.1007:
	v_mul_f32_e32 v1, v5, v5
	s_mov_b32 s1, 0x2f309231
	v_fmaak_f32 v2, s1, v1, 0xb2d7322b
	v_fmaak_f32 v2, v1, v2, 0x3638ef1d
	;; [unrolled: 1-line block ×5, first 2 shown]
	v_fma_f32 v1, v1, v2, 1.0
.LBB15_1008:
	s_or_b32 exec_lo, exec_lo, s0
.LBB15_1009:
	s_or_b32 exec_lo, exec_lo, s10
	v_add_co_u32 v3, s0, s8, v0
	v_add_co_ci_u32_e64 v4, null, s9, 0, s0
	s_and_b32 s1, s29, 0xff
	s_cmp_lt_i32 s1, 11
	s_cbranch_scc1 .LBB15_1019
; %bb.1010:
	s_and_b32 s8, 0xffff, s1
	s_mov_b32 s9, -1
	s_cmp_gt_i32 s8, 25
	s_mov_b32 s0, s36
	s_cbranch_scc0 .LBB15_1047
; %bb.1011:
	s_cmp_gt_i32 s8, 28
	s_mov_b32 s0, s36
	s_cbranch_scc0 .LBB15_1031
; %bb.1012:
	;; [unrolled: 4-line block ×4, first 2 shown]
	s_cmp_eq_u32 s8, 46
	s_mov_b32 s0, -1
	s_cbranch_scc0 .LBB15_1020
; %bb.1015:
	v_bfe_u32 v0, v1, 16, 1
	v_cmp_o_f32_e32 vcc_lo, v1, v1
	v_mov_b32_e32 v2, 0x7fc0
	s_mov_b32 s0, 0
	s_mov_b32 s9, 0
	v_add3_u32 v0, v1, v0, 0x7fff
	v_cndmask_b32_sdwa v0, v2, v0, vcc_lo dst_sel:DWORD dst_unused:UNUSED_PAD src0_sel:DWORD src1_sel:WORD_1
	global_store_dword v[3:4], v0, off
	s_branch .LBB15_1021
.LBB15_1016:
	s_or_b32 exec_lo, exec_lo, s7
	s_and_saveexec_b32 s0, s36
	s_cbranch_execnz .LBB15_1089
.LBB15_1017:
	s_or_b32 exec_lo, exec_lo, s0
	s_and_saveexec_b32 s0, s11
	s_xor_b32 s0, exec_lo, s0
	s_cbranch_execz .LBB15_1090
.LBB15_1018:
	v_cmp_neq_f32_e32 vcc_lo, 0, v1
	v_cndmask_b32_e64 v0, 0, 1, vcc_lo
	s_waitcnt vmcnt(0)
	global_store_byte v[3:4], v0, off
	s_or_b32 exec_lo, exec_lo, s0
	s_and_saveexec_b32 s0, s10
	s_xor_b32 s0, exec_lo, s0
	s_cbranch_execz .LBB15_1128
	s_branch .LBB15_1091
.LBB15_1019:
	s_mov_b32 s11, 0
	s_mov_b32 s9, -1
	s_mov_b32 s0, s36
	s_branch .LBB15_1088
.LBB15_1020:
	s_mov_b32 s9, 0
.LBB15_1021:
	s_and_b32 vcc_lo, exec_lo, s9
	s_cbranch_vccz .LBB15_1026
; %bb.1022:
	s_cmp_eq_u32 s8, 44
	s_mov_b32 s0, -1
	s_cbranch_scc0 .LBB15_1026
; %bb.1023:
	v_bfe_u32 v2, v1, 23, 8
	v_mov_b32_e32 v0, 0xff
	s_mov_b32 s9, exec_lo
	v_cmpx_ne_u32_e32 0xff, v2
	s_cbranch_execz .LBB15_1025
; %bb.1024:
	v_and_b32_e32 v0, 0x400000, v1
	v_and_or_b32 v2, 0x3fffff, v1, v2
	v_cmp_ne_u32_e32 vcc_lo, 0, v0
	v_cmp_ne_u32_e64 s0, 0, v2
	v_lshrrev_b32_e32 v0, 23, v1
	s_and_b32 s0, vcc_lo, s0
	v_cndmask_b32_e64 v2, 0, 1, s0
	v_add_nc_u32_e32 v0, v0, v2
.LBB15_1025:
	s_or_b32 exec_lo, exec_lo, s9
	s_mov_b32 s0, 0
	global_store_byte v[3:4], v0, off
.LBB15_1026:
	s_mov_b32 s9, 0
.LBB15_1027:
	s_and_b32 vcc_lo, exec_lo, s9
	s_cbranch_vccz .LBB15_1030
; %bb.1028:
	s_cmp_eq_u32 s8, 29
	s_mov_b32 s0, -1
	s_cbranch_scc0 .LBB15_1030
; %bb.1029:
	v_trunc_f32_e32 v0, v1
	s_mov_b32 s0, 0
	s_mov_b32 s9, 0
	v_mul_f32_e32 v2, 0x2f800000, v0
	v_floor_f32_e32 v2, v2
	v_fmamk_f32 v0, v2, 0xcf800000, v0
	v_cvt_u32_f32_e32 v6, v2
	v_cvt_u32_f32_e32 v5, v0
	global_store_dwordx2 v[3:4], v[5:6], off
	s_branch .LBB15_1031
.LBB15_1030:
	s_mov_b32 s9, 0
.LBB15_1031:
	s_and_b32 vcc_lo, exec_lo, s9
	s_cbranch_vccz .LBB15_1046
; %bb.1032:
	s_cmp_lt_i32 s8, 27
	s_mov_b32 s9, -1
	s_cbranch_scc1 .LBB15_1038
; %bb.1033:
	s_cmp_gt_i32 s8, 27
	s_cbranch_scc0 .LBB15_1035
; %bb.1034:
	v_cvt_u32_f32_e32 v0, v1
	s_mov_b32 s9, 0
	global_store_dword v[3:4], v0, off
.LBB15_1035:
	s_andn2_b32 vcc_lo, exec_lo, s9
	s_cbranch_vccnz .LBB15_1037
; %bb.1036:
	v_cvt_u32_f32_e32 v0, v1
	global_store_short v[3:4], v0, off
.LBB15_1037:
	s_mov_b32 s9, 0
.LBB15_1038:
	s_andn2_b32 vcc_lo, exec_lo, s9
	s_cbranch_vccnz .LBB15_1046
; %bb.1039:
	v_and_b32_e32 v0, 0x7fffffff, v1
	v_mov_b32_e32 v2, 0x80
	s_mov_b32 s9, exec_lo
	v_cmpx_gt_u32_e32 0x43800000, v0
	s_cbranch_execz .LBB15_1045
; %bb.1040:
	v_cmp_lt_u32_e32 vcc_lo, 0x3bffffff, v0
	s_mov_b32 s10, 0
                                        ; implicit-def: $vgpr0
	s_and_saveexec_b32 s11, vcc_lo
	s_xor_b32 s11, exec_lo, s11
	s_cbranch_execz .LBB15_1199
; %bb.1041:
	v_bfe_u32 v0, v1, 20, 1
	s_mov_b32 s10, exec_lo
	v_add3_u32 v0, v1, v0, 0x487ffff
	v_lshrrev_b32_e32 v0, 20, v0
	s_andn2_saveexec_b32 s11, s11
	s_cbranch_execnz .LBB15_1200
.LBB15_1042:
	s_or_b32 exec_lo, exec_lo, s11
	v_mov_b32_e32 v2, 0
	s_and_saveexec_b32 s11, s10
.LBB15_1043:
	v_lshrrev_b32_e32 v2, 24, v1
	v_and_or_b32 v2, 0x80, v2, v0
.LBB15_1044:
	s_or_b32 exec_lo, exec_lo, s11
.LBB15_1045:
	s_or_b32 exec_lo, exec_lo, s9
	global_store_byte v[3:4], v2, off
.LBB15_1046:
	s_mov_b32 s9, 0
.LBB15_1047:
	s_and_b32 vcc_lo, exec_lo, s9
	s_mov_b32 s9, 0
	s_cbranch_vccz .LBB15_1087
; %bb.1048:
	s_cmp_gt_i32 s8, 22
	s_mov_b32 s10, -1
	s_cbranch_scc0 .LBB15_1080
; %bb.1049:
	s_cmp_lt_i32 s8, 24
	s_cbranch_scc1 .LBB15_1069
; %bb.1050:
	s_cmp_gt_i32 s8, 24
	s_cbranch_scc0 .LBB15_1058
; %bb.1051:
	v_and_b32_e32 v0, 0x7fffffff, v1
	v_mov_b32_e32 v2, 0x80
	s_mov_b32 s10, exec_lo
	v_cmpx_gt_u32_e32 0x47800000, v0
	s_cbranch_execz .LBB15_1057
; %bb.1052:
	v_cmp_lt_u32_e32 vcc_lo, 0x37ffffff, v0
	s_mov_b32 s11, 0
                                        ; implicit-def: $vgpr0
	s_and_saveexec_b32 s12, vcc_lo
	s_xor_b32 s12, exec_lo, s12
	s_cbranch_execz .LBB15_1335
; %bb.1053:
	v_bfe_u32 v0, v1, 21, 1
	s_mov_b32 s11, exec_lo
	v_add3_u32 v0, v1, v0, 0x88fffff
	v_lshrrev_b32_e32 v0, 21, v0
	s_andn2_saveexec_b32 s12, s12
	s_cbranch_execnz .LBB15_1336
.LBB15_1054:
	s_or_b32 exec_lo, exec_lo, s12
	v_mov_b32_e32 v2, 0
	s_and_saveexec_b32 s12, s11
.LBB15_1055:
	v_lshrrev_b32_e32 v2, 24, v1
	v_and_or_b32 v2, 0x80, v2, v0
.LBB15_1056:
	s_or_b32 exec_lo, exec_lo, s12
.LBB15_1057:
	s_or_b32 exec_lo, exec_lo, s10
	s_mov_b32 s10, 0
	global_store_byte v[3:4], v2, off
.LBB15_1058:
	s_and_b32 vcc_lo, exec_lo, s10
	s_cbranch_vccz .LBB15_1068
; %bb.1059:
	v_and_b32_e32 v2, 0x7fffffff, v1
	s_mov_b32 s10, exec_lo
                                        ; implicit-def: $vgpr0
	v_cmpx_gt_u32_e32 0x43f00000, v2
	s_xor_b32 s10, exec_lo, s10
	s_cbranch_execz .LBB15_1065
; %bb.1060:
	s_mov_b32 s11, exec_lo
                                        ; implicit-def: $vgpr0
	v_cmpx_lt_u32_e32 0x3c7fffff, v2
	s_xor_b32 s11, exec_lo, s11
; %bb.1061:
	v_bfe_u32 v0, v1, 20, 1
	v_add3_u32 v0, v1, v0, 0x407ffff
	v_and_b32_e32 v2, 0xff00000, v0
	v_lshrrev_b32_e32 v0, 20, v0
	v_cmp_ne_u32_e32 vcc_lo, 0x7f00000, v2
	v_cndmask_b32_e32 v0, 0x7e, v0, vcc_lo
; %bb.1062:
	s_andn2_saveexec_b32 s11, s11
; %bb.1063:
	v_add_f32_e64 v0, 0x46800000, |v1|
; %bb.1064:
	s_or_b32 exec_lo, exec_lo, s11
                                        ; implicit-def: $vgpr2
.LBB15_1065:
	s_andn2_saveexec_b32 s10, s10
; %bb.1066:
	v_mov_b32_e32 v0, 0x7f
	v_cmp_lt_u32_e32 vcc_lo, 0x7f800000, v2
	v_cndmask_b32_e32 v0, 0x7e, v0, vcc_lo
; %bb.1067:
	s_or_b32 exec_lo, exec_lo, s10
	v_lshrrev_b32_e32 v2, 24, v1
	v_and_or_b32 v0, 0x80, v2, v0
	global_store_byte v[3:4], v0, off
.LBB15_1068:
	s_mov_b32 s10, 0
.LBB15_1069:
	s_andn2_b32 vcc_lo, exec_lo, s10
	s_cbranch_vccnz .LBB15_1079
; %bb.1070:
	v_and_b32_e32 v2, 0x7fffffff, v1
	s_mov_b32 s10, exec_lo
                                        ; implicit-def: $vgpr0
	v_cmpx_gt_u32_e32 0x47800000, v2
	s_xor_b32 s10, exec_lo, s10
	s_cbranch_execz .LBB15_1076
; %bb.1071:
	s_mov_b32 s11, exec_lo
                                        ; implicit-def: $vgpr0
	v_cmpx_lt_u32_e32 0x387fffff, v2
	s_xor_b32 s11, exec_lo, s11
; %bb.1072:
	v_bfe_u32 v0, v1, 21, 1
	v_add3_u32 v0, v1, v0, 0x80fffff
	v_lshrrev_b32_e32 v0, 21, v0
; %bb.1073:
	s_andn2_saveexec_b32 s11, s11
; %bb.1074:
	v_add_f32_e64 v0, 0x43000000, |v1|
; %bb.1075:
	s_or_b32 exec_lo, exec_lo, s11
                                        ; implicit-def: $vgpr2
.LBB15_1076:
	s_andn2_saveexec_b32 s10, s10
; %bb.1077:
	v_mov_b32_e32 v0, 0x7f
	v_cmp_lt_u32_e32 vcc_lo, 0x7f800000, v2
	v_cndmask_b32_e32 v0, 0x7c, v0, vcc_lo
; %bb.1078:
	s_or_b32 exec_lo, exec_lo, s10
	v_lshrrev_b32_e32 v2, 24, v1
	v_and_or_b32 v0, 0x80, v2, v0
	global_store_byte v[3:4], v0, off
.LBB15_1079:
	s_mov_b32 s10, 0
.LBB15_1080:
	s_andn2_b32 vcc_lo, exec_lo, s10
	s_mov_b32 s11, 0
	s_cbranch_vccnz .LBB15_1088
; %bb.1081:
	s_cmp_gt_i32 s8, 14
	s_mov_b32 s10, -1
	s_cbranch_scc0 .LBB15_1085
; %bb.1082:
	s_cmp_eq_u32 s8, 15
	s_mov_b32 s0, -1
	s_cbranch_scc0 .LBB15_1084
; %bb.1083:
	v_bfe_u32 v0, v1, 16, 1
	v_cmp_o_f32_e32 vcc_lo, v1, v1
	v_mov_b32_e32 v2, 0x7fc0
	s_mov_b32 s0, 0
	v_add3_u32 v0, v1, v0, 0x7fff
	v_cndmask_b32_sdwa v0, v2, v0, vcc_lo dst_sel:DWORD dst_unused:UNUSED_PAD src0_sel:DWORD src1_sel:WORD_1
	global_store_short v[3:4], v0, off
.LBB15_1084:
	s_mov_b32 s10, 0
.LBB15_1085:
	s_and_b32 vcc_lo, exec_lo, s10
	s_cbranch_vccz .LBB15_1088
; %bb.1086:
	s_cmp_lg_u32 s8, 11
	s_mov_b32 s11, -1
	s_cselect_b32 s8, -1, 0
	s_andn2_b32 s0, s0, exec_lo
	s_and_b32 s8, s8, exec_lo
	s_or_b32 s0, s0, s8
	s_branch .LBB15_1088
.LBB15_1087:
	s_mov_b32 s11, 0
.LBB15_1088:
	s_andn2_b32 s8, s36, exec_lo
	s_and_b32 s0, s0, exec_lo
	s_and_b32 s10, s9, exec_lo
	;; [unrolled: 1-line block ×3, first 2 shown]
	s_or_b32 s36, s8, s0
	s_or_b32 exec_lo, exec_lo, s7
	s_and_saveexec_b32 s0, s36
	s_cbranch_execz .LBB15_1017
.LBB15_1089:
	s_or_b32 s6, s6, exec_lo
	s_andn2_b32 s11, s11, exec_lo
	s_trap 2
	s_or_b32 exec_lo, exec_lo, s0
	s_and_saveexec_b32 s0, s11
	s_xor_b32 s0, exec_lo, s0
	s_cbranch_execnz .LBB15_1018
.LBB15_1090:
	s_or_b32 exec_lo, exec_lo, s0
	s_and_saveexec_b32 s0, s10
	s_xor_b32 s0, exec_lo, s0
	s_cbranch_execz .LBB15_1128
.LBB15_1091:
	s_sext_i32_i16 s8, s1
	s_mov_b32 s7, -1
	s_cmp_lt_i32 s8, 5
	s_cbranch_scc1 .LBB15_1112
; %bb.1092:
	s_cmp_lt_i32 s8, 8
	s_cbranch_scc1 .LBB15_1102
; %bb.1093:
	s_cmp_lt_i32 s8, 9
	s_cbranch_scc1 .LBB15_1099
; %bb.1094:
	s_cmp_gt_i32 s8, 9
	s_cbranch_scc0 .LBB15_1096
; %bb.1095:
	s_waitcnt vmcnt(0)
	v_cvt_f64_f32_e32 v[5:6], v1
	v_mov_b32_e32 v7, 0
	s_mov_b32 s7, 0
	v_mov_b32_e32 v8, v7
	global_store_dwordx4 v[3:4], v[5:8], off
.LBB15_1096:
	s_andn2_b32 vcc_lo, exec_lo, s7
	s_cbranch_vccnz .LBB15_1098
; %bb.1097:
	v_mov_b32_e32 v2, 0
	s_waitcnt vmcnt(0)
	global_store_dwordx2 v[3:4], v[1:2], off
.LBB15_1098:
	s_mov_b32 s7, 0
.LBB15_1099:
	s_andn2_b32 vcc_lo, exec_lo, s7
	s_cbranch_vccnz .LBB15_1101
; %bb.1100:
	v_cvt_f16_f32_e32 v0, v1
	v_and_b32_e32 v0, 0xffff, v0
	s_waitcnt vmcnt(0)
	global_store_dword v[3:4], v0, off
.LBB15_1101:
	s_mov_b32 s7, 0
.LBB15_1102:
	s_andn2_b32 vcc_lo, exec_lo, s7
	s_cbranch_vccnz .LBB15_1111
; %bb.1103:
	s_sext_i32_i16 s8, s1
	s_mov_b32 s7, -1
	s_cmp_lt_i32 s8, 6
	s_cbranch_scc1 .LBB15_1109
; %bb.1104:
	s_cmp_gt_i32 s8, 6
	s_cbranch_scc0 .LBB15_1106
; %bb.1105:
	s_waitcnt vmcnt(0)
	v_cvt_f64_f32_e32 v[5:6], v1
	s_mov_b32 s7, 0
	global_store_dwordx2 v[3:4], v[5:6], off
.LBB15_1106:
	s_andn2_b32 vcc_lo, exec_lo, s7
	s_cbranch_vccnz .LBB15_1108
; %bb.1107:
	s_waitcnt vmcnt(0)
	global_store_dword v[3:4], v1, off
.LBB15_1108:
	s_mov_b32 s7, 0
.LBB15_1109:
	s_andn2_b32 vcc_lo, exec_lo, s7
	s_cbranch_vccnz .LBB15_1111
; %bb.1110:
	v_cvt_f16_f32_e32 v0, v1
	s_waitcnt vmcnt(0)
	global_store_short v[3:4], v0, off
.LBB15_1111:
	s_mov_b32 s7, 0
.LBB15_1112:
	s_andn2_b32 vcc_lo, exec_lo, s7
	s_cbranch_vccnz .LBB15_1128
; %bb.1113:
	s_sext_i32_i16 s8, s1
	s_mov_b32 s7, -1
	s_cmp_lt_i32 s8, 2
	s_cbranch_scc1 .LBB15_1123
; %bb.1114:
	s_cmp_lt_i32 s8, 3
	s_cbranch_scc1 .LBB15_1120
; %bb.1115:
	s_cmp_gt_i32 s8, 3
	s_cbranch_scc0 .LBB15_1117
; %bb.1116:
	v_trunc_f32_e32 v0, v1
	s_mov_b32 s7, 0
	v_mul_f32_e64 v2, 0x2f800000, |v0|
	v_floor_f32_e32 v2, v2
	s_waitcnt vmcnt(0)
	v_fma_f32 v5, 0xcf800000, v2, |v0|
	v_ashrrev_i32_e32 v0, 31, v0
	v_cvt_u32_f32_e32 v2, v2
	v_cvt_u32_f32_e32 v5, v5
	v_xor_b32_e32 v2, v2, v0
	v_xor_b32_e32 v5, v5, v0
	v_sub_co_u32 v5, vcc_lo, v5, v0
	v_sub_co_ci_u32_e64 v6, null, v2, v0, vcc_lo
	global_store_dwordx2 v[3:4], v[5:6], off
.LBB15_1117:
	s_andn2_b32 vcc_lo, exec_lo, s7
	s_cbranch_vccnz .LBB15_1119
; %bb.1118:
	v_cvt_i32_f32_e32 v0, v1
	s_waitcnt vmcnt(0)
	global_store_dword v[3:4], v0, off
.LBB15_1119:
	s_mov_b32 s7, 0
.LBB15_1120:
	s_andn2_b32 vcc_lo, exec_lo, s7
	s_cbranch_vccnz .LBB15_1122
; %bb.1121:
	v_cvt_i32_f32_e32 v0, v1
	s_waitcnt vmcnt(0)
	global_store_short v[3:4], v0, off
.LBB15_1122:
	s_mov_b32 s7, 0
.LBB15_1123:
	s_andn2_b32 vcc_lo, exec_lo, s7
	s_cbranch_vccnz .LBB15_1128
; %bb.1124:
	s_sext_i32_i16 s1, s1
	s_cmp_gt_i32 s1, 0
	s_mov_b32 s1, -1
	s_cbranch_scc0 .LBB15_1126
; %bb.1125:
	v_cvt_i32_f32_e32 v0, v1
	s_mov_b32 s1, 0
	s_waitcnt vmcnt(0)
	global_store_byte v[3:4], v0, off
.LBB15_1126:
	s_andn2_b32 vcc_lo, exec_lo, s1
	s_cbranch_vccnz .LBB15_1128
; %bb.1127:
	v_trunc_f32_e32 v0, v1
	v_mul_f32_e64 v1, 0x2f800000, |v0|
	v_floor_f32_e32 v1, v1
	v_fma_f32 v1, 0xcf800000, v1, |v0|
	v_ashrrev_i32_e32 v0, 31, v0
	v_cvt_u32_f32_e32 v1, v1
	v_xor_b32_e32 v1, v1, v0
	v_sub_nc_u32_e32 v0, v1, v0
	s_waitcnt vmcnt(0)
	global_store_byte v[3:4], v0, off
.LBB15_1128:
	s_or_b32 exec_lo, exec_lo, s0
	s_and_b32 s12, s6, exec_lo
                                        ; implicit-def: $vgpr15
                                        ; implicit-def: $vgpr8
.LBB15_1129:
	s_or_saveexec_b32 s13, s28
	s_mov_b32 s0, 0
                                        ; implicit-def: $vgpr0_vgpr1
                                        ; implicit-def: $sgpr1
                                        ; implicit-def: $vgpr7
	s_xor_b32 exec_lo, exec_lo, s13
	s_cbranch_execz .LBB15_1822
; %bb.1130:
	v_cndmask_b32_e64 v0, 0, 1, s27
	s_andn2_b32 vcc_lo, exec_lo, s27
	s_cbranch_vccnz .LBB15_1136
; %bb.1131:
	s_cmp_lg_u32 s24, 0
	s_mov_b32 s8, 0
	s_cbranch_scc0 .LBB15_1137
; %bb.1132:
	s_min_u32 s10, s25, 15
	s_add_i32 s10, s10, 1
	s_cmp_eq_u32 s25, 2
	s_cbranch_scc1 .LBB15_1138
; %bb.1133:
	v_mov_b32_e32 v13, 0
	v_mov_b32_e32 v6, 0
	;; [unrolled: 1-line block ×3, first 2 shown]
	s_and_b32 s9, s10, 28
	s_add_u32 s0, s2, 0xc4
	s_addc_u32 s1, s3, 0
	s_mov_b32 s11, 0
	s_mov_b64 s[6:7], s[2:3]
.LBB15_1134:                            ; =>This Inner Loop Header: Depth=1
	s_clause 0x1
	s_load_dwordx8 s[16:23], s[6:7], 0x4
	s_load_dwordx4 s[28:31], s[6:7], 0x24
	s_load_dwordx8 s[36:43], s[0:1], 0x0
	s_add_u32 s6, s6, 48
	s_addc_u32 s7, s7, 0
	s_add_i32 s11, s11, 4
	s_add_u32 s0, s0, 32
	s_addc_u32 s1, s1, 0
	s_cmp_lg_u32 s9, s11
	s_waitcnt lgkmcnt(0)
	v_mul_hi_u32 v2, s17, v1
	v_add_nc_u32_e32 v2, v1, v2
	v_lshrrev_b32_e32 v2, s18, v2
	s_waitcnt vmcnt(0)
	v_mul_hi_u32 v3, s20, v2
	v_mul_lo_u32 v5, v2, s16
	v_add_nc_u32_e32 v3, v2, v3
	v_sub_nc_u32_e32 v1, v1, v5
	v_lshrrev_b32_e32 v3, s21, v3
	v_mul_lo_u32 v5, v1, s36
	v_mul_lo_u32 v9, v1, s37
	v_mul_hi_u32 v4, s23, v3
	v_add_nc_u32_e32 v4, v3, v4
	v_lshrrev_b32_e32 v4, s28, v4
	v_mul_hi_u32 v7, s30, v4
	v_mul_lo_u32 v10, v4, s22
	v_add_nc_u32_e32 v1, v4, v7
	v_mul_lo_u32 v7, v3, s19
	v_sub_nc_u32_e32 v3, v3, v10
	v_lshrrev_b32_e32 v1, s31, v1
	v_mul_lo_u32 v10, v3, s40
	v_mul_lo_u32 v3, v3, s41
	v_sub_nc_u32_e32 v2, v2, v7
	v_mul_lo_u32 v11, v1, s29
	v_mul_lo_u32 v7, v2, s38
	;; [unrolled: 1-line block ×3, first 2 shown]
	v_sub_nc_u32_e32 v4, v4, v11
	v_add3_u32 v5, v5, v6, v7
	v_mul_lo_u32 v11, v4, s42
	v_mul_lo_u32 v4, v4, s43
	v_add3_u32 v2, v9, v13, v2
	v_add3_u32 v6, v10, v5, v11
	;; [unrolled: 1-line block ×3, first 2 shown]
	s_cbranch_scc1 .LBB15_1134
; %bb.1135:
	s_and_b32 s10, s10, 3
	s_cmp_eq_u32 s10, 0
	s_cbranch_scc0 .LBB15_1139
	s_branch .LBB15_1141
.LBB15_1136:
	s_mov_b32 s8, -1
                                        ; implicit-def: $vgpr6
                                        ; implicit-def: $vgpr13
	s_branch .LBB15_1141
.LBB15_1137:
	v_mov_b32_e32 v6, 0
	v_mov_b32_e32 v13, 0
	s_branch .LBB15_1141
.LBB15_1138:
	v_mov_b32_e32 v6, 0
	v_mov_b32_e32 v13, 0
	;; [unrolled: 1-line block ×3, first 2 shown]
	s_mov_b32 s9, 0
	s_and_b32 s10, s10, 3
	s_cmp_eq_u32 s10, 0
	s_cbranch_scc1 .LBB15_1141
.LBB15_1139:
	s_lshl_b32 s0, s9, 3
	s_mul_i32 s6, s9, 12
	s_add_u32 s0, s2, s0
	s_addc_u32 s1, s3, 0
	s_add_u32 s0, s0, 0xc4
	s_addc_u32 s1, s1, 0
	;; [unrolled: 2-line block ×3, first 2 shown]
	.p2align	6
.LBB15_1140:                            ; =>This Inner Loop Header: Depth=1
	s_clause 0x1
	s_load_dwordx2 s[14:15], s[6:7], 0x4
	s_load_dword s9, s[6:7], 0xc
	s_load_dwordx2 s[16:17], s[0:1], 0x0
	s_add_u32 s6, s6, 12
	s_addc_u32 s7, s7, 0
	s_add_u32 s0, s0, 8
	s_addc_u32 s1, s1, 0
	s_add_i32 s10, s10, -1
	s_cmp_lg_u32 s10, 0
	s_waitcnt lgkmcnt(0)
	v_mul_hi_u32 v2, s15, v1
	v_add_nc_u32_e32 v2, v1, v2
	v_lshrrev_b32_e32 v2, s9, v2
	s_waitcnt vmcnt(0)
	v_mul_lo_u32 v3, v2, s14
	v_sub_nc_u32_e32 v1, v1, v3
	v_mad_u64_u32 v[6:7], null, v1, s16, v[6:7]
	v_mad_u64_u32 v[13:14], null, v1, s17, v[13:14]
	v_mov_b32_e32 v1, v2
	s_cbranch_scc1 .LBB15_1140
.LBB15_1141:
	s_andn2_b32 vcc_lo, exec_lo, s8
	s_cbranch_vccnz .LBB15_1144
; %bb.1142:
	s_clause 0x1
	s_load_dwordx4 s[8:11], s[2:3], 0x4
	s_load_dwordx2 s[0:1], s[2:3], 0xc4
	s_cmp_lt_u32 s24, 2
	s_waitcnt lgkmcnt(0)
	v_mul_hi_u32 v1, s9, v8
	v_add_nc_u32_e32 v1, v8, v1
	v_lshrrev_b32_e32 v1, s10, v1
	v_mul_lo_u32 v2, v1, s8
	v_sub_nc_u32_e32 v2, v8, v2
	v_mul_lo_u32 v6, v2, s0
	v_mul_lo_u32 v13, v2, s1
	s_cbranch_scc1 .LBB15_1144
; %bb.1143:
	s_clause 0x1
	s_load_dwordx4 s[8:11], s[2:3], 0x10
	s_load_dwordx2 s[0:1], s[2:3], 0xcc
	s_waitcnt lgkmcnt(0)
	v_mul_hi_u32 v2, s9, v1
	v_add_nc_u32_e32 v2, v1, v2
	v_lshrrev_b32_e32 v2, s10, v2
	v_mul_lo_u32 v2, v2, s8
	v_sub_nc_u32_e32 v1, v1, v2
	v_mad_u64_u32 v[6:7], null, v1, s0, v[6:7]
	v_mad_u64_u32 v[13:14], null, v1, s1, v[13:14]
.LBB15_1144:
	v_cmp_ne_u32_e32 vcc_lo, 1, v0
	v_add_nc_u32_e32 v1, 0x80, v8
	s_cbranch_vccnz .LBB15_1150
; %bb.1145:
	s_cmp_lg_u32 s24, 0
	s_mov_b32 s8, 0
	s_cbranch_scc0 .LBB15_1151
; %bb.1146:
	s_min_u32 s10, s25, 15
	s_add_i32 s10, s10, 1
	s_cmp_eq_u32 s25, 2
	s_cbranch_scc1 .LBB15_1152
; %bb.1147:
	v_mov_b32_e32 v11, 0
	v_mov_b32_e32 v4, 0
	;; [unrolled: 1-line block ×3, first 2 shown]
	s_and_b32 s9, s10, 28
	s_add_u32 s0, s2, 0xc4
	s_addc_u32 s1, s3, 0
	s_mov_b32 s11, 0
	s_mov_b64 s[6:7], s[2:3]
.LBB15_1148:                            ; =>This Inner Loop Header: Depth=1
	s_clause 0x1
	s_load_dwordx8 s[16:23], s[6:7], 0x4
	s_load_dwordx4 s[28:31], s[6:7], 0x24
	s_load_dwordx8 s[36:43], s[0:1], 0x0
	s_add_u32 s6, s6, 48
	s_addc_u32 s7, s7, 0
	s_add_i32 s11, s11, 4
	s_add_u32 s0, s0, 32
	s_addc_u32 s1, s1, 0
	s_cmp_lg_u32 s9, s11
	s_waitcnt vmcnt(0) lgkmcnt(0)
	v_mul_hi_u32 v3, s17, v2
	v_add_nc_u32_e32 v3, v2, v3
	v_lshrrev_b32_e32 v3, s18, v3
	v_mul_hi_u32 v5, s20, v3
	v_mul_lo_u32 v9, v3, s16
	v_add_nc_u32_e32 v5, v3, v5
	v_sub_nc_u32_e32 v2, v2, v9
	v_lshrrev_b32_e32 v5, s21, v5
	v_mul_lo_u32 v9, v2, s36
	v_mul_lo_u32 v12, v2, s37
	v_mul_hi_u32 v7, s23, v5
	v_add_nc_u32_e32 v7, v5, v7
	v_lshrrev_b32_e32 v7, s28, v7
	v_mul_hi_u32 v10, s30, v7
	v_mul_lo_u32 v14, v7, s22
	v_add_nc_u32_e32 v2, v7, v10
	v_mul_lo_u32 v10, v5, s19
	v_sub_nc_u32_e32 v5, v5, v14
	v_lshrrev_b32_e32 v2, s31, v2
	v_mul_lo_u32 v14, v5, s40
	v_mul_lo_u32 v5, v5, s41
	v_sub_nc_u32_e32 v3, v3, v10
	v_mul_lo_u32 v16, v2, s29
	v_mul_lo_u32 v10, v3, s38
	;; [unrolled: 1-line block ×3, first 2 shown]
	v_sub_nc_u32_e32 v7, v7, v16
	v_add3_u32 v4, v9, v4, v10
	v_mul_lo_u32 v16, v7, s42
	v_mul_lo_u32 v7, v7, s43
	v_add3_u32 v3, v12, v11, v3
	v_add3_u32 v4, v14, v4, v16
	;; [unrolled: 1-line block ×3, first 2 shown]
	s_cbranch_scc1 .LBB15_1148
; %bb.1149:
	s_and_b32 s10, s10, 3
	s_cmp_eq_u32 s10, 0
	s_cbranch_scc0 .LBB15_1153
	s_branch .LBB15_1155
.LBB15_1150:
	s_mov_b32 s8, -1
                                        ; implicit-def: $vgpr4
                                        ; implicit-def: $vgpr11
	s_branch .LBB15_1155
.LBB15_1151:
	v_mov_b32_e32 v4, 0
	v_mov_b32_e32 v11, 0
	s_branch .LBB15_1155
.LBB15_1152:
	v_mov_b32_e32 v4, 0
	v_mov_b32_e32 v11, 0
	;; [unrolled: 1-line block ×3, first 2 shown]
	s_mov_b32 s9, 0
	s_and_b32 s10, s10, 3
	s_cmp_eq_u32 s10, 0
	s_cbranch_scc1 .LBB15_1155
.LBB15_1153:
	s_lshl_b32 s0, s9, 3
	s_mul_i32 s6, s9, 12
	s_add_u32 s0, s2, s0
	s_addc_u32 s1, s3, 0
	s_add_u32 s0, s0, 0xc4
	s_addc_u32 s1, s1, 0
	;; [unrolled: 2-line block ×3, first 2 shown]
	.p2align	6
.LBB15_1154:                            ; =>This Inner Loop Header: Depth=1
	s_clause 0x1
	s_load_dwordx2 s[14:15], s[6:7], 0x4
	s_load_dword s9, s[6:7], 0xc
	s_load_dwordx2 s[16:17], s[0:1], 0x0
	s_add_u32 s6, s6, 12
	s_addc_u32 s7, s7, 0
	s_add_u32 s0, s0, 8
	s_addc_u32 s1, s1, 0
	s_add_i32 s10, s10, -1
	s_cmp_lg_u32 s10, 0
	s_waitcnt vmcnt(0) lgkmcnt(0)
	v_mul_hi_u32 v3, s15, v2
	v_add_nc_u32_e32 v3, v2, v3
	v_lshrrev_b32_e32 v3, s9, v3
	v_mul_lo_u32 v5, v3, s14
	v_sub_nc_u32_e32 v2, v2, v5
	v_mad_u64_u32 v[4:5], null, v2, s16, v[4:5]
	v_mad_u64_u32 v[11:12], null, v2, s17, v[11:12]
	v_mov_b32_e32 v2, v3
	s_cbranch_scc1 .LBB15_1154
.LBB15_1155:
	s_andn2_b32 vcc_lo, exec_lo, s8
	s_cbranch_vccnz .LBB15_1158
; %bb.1156:
	s_clause 0x1
	s_load_dwordx4 s[8:11], s[2:3], 0x4
	s_load_dwordx2 s[0:1], s[2:3], 0xc4
	s_cmp_lt_u32 s24, 2
	s_waitcnt lgkmcnt(0)
	v_mul_hi_u32 v2, s9, v1
	v_add_nc_u32_e32 v2, v1, v2
	v_lshrrev_b32_e32 v2, s10, v2
	s_waitcnt vmcnt(0)
	v_mul_lo_u32 v3, v2, s8
	v_sub_nc_u32_e32 v1, v1, v3
	v_mul_lo_u32 v4, v1, s0
	v_mul_lo_u32 v11, v1, s1
	s_cbranch_scc1 .LBB15_1158
; %bb.1157:
	s_clause 0x1
	s_load_dwordx4 s[8:11], s[2:3], 0x10
	s_load_dwordx2 s[0:1], s[2:3], 0xcc
	s_waitcnt lgkmcnt(0)
	v_mul_hi_u32 v1, s9, v2
	v_add_nc_u32_e32 v1, v2, v1
	v_lshrrev_b32_e32 v1, s10, v1
	v_mul_lo_u32 v1, v1, s8
	v_sub_nc_u32_e32 v1, v2, v1
	v_mad_u64_u32 v[4:5], null, v1, s0, v[4:5]
	v_mad_u64_u32 v[11:12], null, v1, s1, v[11:12]
.LBB15_1158:
	v_cmp_ne_u32_e32 vcc_lo, 1, v0
	v_add_nc_u32_e32 v1, 0x100, v8
	s_cbranch_vccnz .LBB15_1164
; %bb.1159:
	s_cmp_lg_u32 s24, 0
	s_mov_b32 s8, 0
	s_cbranch_scc0 .LBB15_1165
; %bb.1160:
	s_min_u32 s10, s25, 15
	s_add_i32 s10, s10, 1
	s_cmp_eq_u32 s25, 2
	s_cbranch_scc1 .LBB15_1166
; %bb.1161:
	v_mov_b32_e32 v9, 0
	v_mov_b32_e32 v2, 0
	s_waitcnt vmcnt(0)
	v_mov_b32_e32 v3, v1
	s_and_b32 s9, s10, 28
	s_add_u32 s0, s2, 0xc4
	s_addc_u32 s1, s3, 0
	s_mov_b32 s11, 0
	s_mov_b64 s[6:7], s[2:3]
.LBB15_1162:                            ; =>This Inner Loop Header: Depth=1
	s_clause 0x1
	s_load_dwordx8 s[16:23], s[6:7], 0x4
	s_load_dwordx4 s[28:31], s[6:7], 0x24
	s_load_dwordx8 s[36:43], s[0:1], 0x0
	s_add_u32 s6, s6, 48
	s_addc_u32 s7, s7, 0
	s_add_i32 s11, s11, 4
	s_add_u32 s0, s0, 32
	s_addc_u32 s1, s1, 0
	s_cmp_lg_u32 s9, s11
	s_waitcnt lgkmcnt(0)
	v_mul_hi_u32 v5, s17, v3
	v_add_nc_u32_e32 v5, v3, v5
	v_lshrrev_b32_e32 v5, s18, v5
	v_mul_hi_u32 v7, s20, v5
	v_mul_lo_u32 v10, v5, s16
	v_add_nc_u32_e32 v7, v5, v7
	v_sub_nc_u32_e32 v3, v3, v10
	v_lshrrev_b32_e32 v7, s21, v7
	v_mul_lo_u32 v10, v3, s36
	v_mul_lo_u32 v14, v3, s37
	v_mul_hi_u32 v8, s23, v7
	v_add_nc_u32_e32 v8, v7, v8
	v_lshrrev_b32_e32 v8, s28, v8
	v_mul_hi_u32 v12, s30, v8
	v_mul_lo_u32 v16, v8, s22
	v_add_nc_u32_e32 v3, v8, v12
	v_mul_lo_u32 v12, v7, s19
	v_sub_nc_u32_e32 v7, v7, v16
	v_lshrrev_b32_e32 v3, s31, v3
	v_mul_lo_u32 v16, v7, s40
	v_mul_lo_u32 v7, v7, s41
	v_sub_nc_u32_e32 v5, v5, v12
	v_mul_lo_u32 v17, v3, s29
	v_mul_lo_u32 v12, v5, s38
	;; [unrolled: 1-line block ×3, first 2 shown]
	v_sub_nc_u32_e32 v8, v8, v17
	v_add3_u32 v2, v10, v2, v12
	v_mul_lo_u32 v17, v8, s42
	v_mul_lo_u32 v8, v8, s43
	v_add3_u32 v5, v14, v9, v5
	v_add3_u32 v2, v16, v2, v17
	;; [unrolled: 1-line block ×3, first 2 shown]
	s_cbranch_scc1 .LBB15_1162
; %bb.1163:
	s_and_b32 s10, s10, 3
	s_cmp_eq_u32 s10, 0
	s_cbranch_scc0 .LBB15_1167
	s_branch .LBB15_1169
.LBB15_1164:
	s_mov_b32 s8, -1
                                        ; implicit-def: $vgpr2
                                        ; implicit-def: $vgpr9
	s_branch .LBB15_1169
.LBB15_1165:
	v_mov_b32_e32 v2, 0
	v_mov_b32_e32 v9, 0
	s_branch .LBB15_1169
.LBB15_1166:
	v_mov_b32_e32 v2, 0
	v_mov_b32_e32 v9, 0
	s_waitcnt vmcnt(0)
	v_mov_b32_e32 v3, v1
	s_mov_b32 s9, 0
	s_and_b32 s10, s10, 3
	s_cmp_eq_u32 s10, 0
	s_cbranch_scc1 .LBB15_1169
.LBB15_1167:
	s_lshl_b32 s0, s9, 3
	s_mul_i32 s6, s9, 12
	s_add_u32 s0, s2, s0
	s_addc_u32 s1, s3, 0
	s_add_u32 s0, s0, 0xc4
	s_addc_u32 s1, s1, 0
	;; [unrolled: 2-line block ×3, first 2 shown]
	.p2align	6
.LBB15_1168:                            ; =>This Inner Loop Header: Depth=1
	s_clause 0x1
	s_load_dwordx2 s[14:15], s[6:7], 0x4
	s_load_dword s9, s[6:7], 0xc
	s_load_dwordx2 s[16:17], s[0:1], 0x0
	s_add_u32 s6, s6, 12
	s_addc_u32 s7, s7, 0
	s_add_u32 s0, s0, 8
	s_addc_u32 s1, s1, 0
	s_add_i32 s10, s10, -1
	s_cmp_lg_u32 s10, 0
	s_waitcnt lgkmcnt(0)
	v_mul_hi_u32 v5, s15, v3
	v_add_nc_u32_e32 v5, v3, v5
	v_lshrrev_b32_e32 v5, s9, v5
	v_mul_lo_u32 v7, v5, s14
	v_sub_nc_u32_e32 v7, v3, v7
	v_mad_u64_u32 v[2:3], null, v7, s16, v[2:3]
	v_mad_u64_u32 v[9:10], null, v7, s17, v[9:10]
	v_mov_b32_e32 v3, v5
	s_cbranch_scc1 .LBB15_1168
.LBB15_1169:
	s_andn2_b32 vcc_lo, exec_lo, s8
	s_cbranch_vccnz .LBB15_1172
; %bb.1170:
	s_clause 0x1
	s_load_dwordx4 s[8:11], s[2:3], 0x4
	s_load_dwordx2 s[0:1], s[2:3], 0xc4
	s_cmp_lt_u32 s24, 2
	s_waitcnt lgkmcnt(0)
	v_mul_hi_u32 v2, s9, v1
	v_add_nc_u32_e32 v2, v1, v2
	s_waitcnt vmcnt(0)
	v_lshrrev_b32_e32 v3, s10, v2
	v_mul_lo_u32 v2, v3, s8
	v_sub_nc_u32_e32 v1, v1, v2
	v_mul_lo_u32 v2, v1, s0
	v_mul_lo_u32 v9, v1, s1
	s_cbranch_scc1 .LBB15_1172
; %bb.1171:
	s_clause 0x1
	s_load_dwordx4 s[8:11], s[2:3], 0x10
	s_load_dwordx2 s[0:1], s[2:3], 0xcc
	s_waitcnt lgkmcnt(0)
	v_mul_hi_u32 v1, s9, v3
	v_add_nc_u32_e32 v1, v3, v1
	v_lshrrev_b32_e32 v1, s10, v1
	v_mul_lo_u32 v1, v1, s8
	v_sub_nc_u32_e32 v1, v3, v1
	v_mad_u64_u32 v[2:3], null, v1, s0, v[2:3]
	v_mad_u64_u32 v[9:10], null, v1, s1, v[9:10]
.LBB15_1172:
	v_cmp_ne_u32_e32 vcc_lo, 1, v0
	s_cbranch_vccnz .LBB15_1178
; %bb.1173:
	s_cmp_lg_u32 s24, 0
	s_mov_b32 s8, 0
	s_cbranch_scc0 .LBB15_1179
; %bb.1174:
	s_min_u32 s10, s25, 15
	s_add_i32 s10, s10, 1
	s_cmp_eq_u32 s25, 2
	s_cbranch_scc1 .LBB15_1180
; %bb.1175:
	v_mov_b32_e32 v7, 0
	v_mov_b32_e32 v0, 0
	;; [unrolled: 1-line block ×3, first 2 shown]
	s_and_b32 s9, s10, 28
	s_add_u32 s0, s2, 0xc4
	s_addc_u32 s1, s3, 0
	s_mov_b32 s11, 0
	s_mov_b64 s[6:7], s[2:3]
.LBB15_1176:                            ; =>This Inner Loop Header: Depth=1
	s_clause 0x1
	s_load_dwordx8 s[16:23], s[6:7], 0x4
	s_load_dwordx4 s[28:31], s[6:7], 0x24
	s_load_dwordx8 s[36:43], s[0:1], 0x0
	s_add_u32 s6, s6, 48
	s_addc_u32 s7, s7, 0
	s_add_i32 s11, s11, 4
	s_add_u32 s0, s0, 32
	s_addc_u32 s1, s1, 0
	s_cmp_lg_u32 s9, s11
	s_waitcnt vmcnt(0) lgkmcnt(0)
	v_mul_hi_u32 v3, s17, v1
	v_add_nc_u32_e32 v3, v1, v3
	v_lshrrev_b32_e32 v3, s18, v3
	v_mul_hi_u32 v5, s20, v3
	v_mul_lo_u32 v10, v3, s16
	v_add_nc_u32_e32 v5, v3, v5
	v_sub_nc_u32_e32 v1, v1, v10
	v_lshrrev_b32_e32 v5, s21, v5
	v_mul_lo_u32 v10, v1, s36
	v_mul_lo_u32 v14, v1, s37
	v_mul_hi_u32 v8, s23, v5
	v_add_nc_u32_e32 v8, v5, v8
	v_lshrrev_b32_e32 v8, s28, v8
	v_mul_hi_u32 v12, s30, v8
	v_mul_lo_u32 v16, v8, s22
	v_add_nc_u32_e32 v1, v8, v12
	v_mul_lo_u32 v12, v5, s19
	v_sub_nc_u32_e32 v5, v5, v16
	v_lshrrev_b32_e32 v1, s31, v1
	v_mul_lo_u32 v16, v5, s40
	v_mul_lo_u32 v5, v5, s41
	v_sub_nc_u32_e32 v3, v3, v12
	v_mul_lo_u32 v17, v1, s29
	v_mul_lo_u32 v12, v3, s38
	;; [unrolled: 1-line block ×3, first 2 shown]
	v_sub_nc_u32_e32 v8, v8, v17
	v_add3_u32 v0, v10, v0, v12
	v_mul_lo_u32 v17, v8, s42
	v_mul_lo_u32 v8, v8, s43
	v_add3_u32 v3, v14, v7, v3
	v_add3_u32 v0, v16, v0, v17
	;; [unrolled: 1-line block ×3, first 2 shown]
	s_cbranch_scc1 .LBB15_1176
; %bb.1177:
	s_and_b32 s10, s10, 3
	s_cmp_eq_u32 s10, 0
	s_cbranch_scc0 .LBB15_1181
	s_branch .LBB15_1183
.LBB15_1178:
	s_mov_b32 s8, -1
                                        ; implicit-def: $vgpr0
                                        ; implicit-def: $vgpr7
	s_branch .LBB15_1183
.LBB15_1179:
	v_mov_b32_e32 v0, 0
	v_mov_b32_e32 v7, 0
	s_branch .LBB15_1183
.LBB15_1180:
	v_mov_b32_e32 v0, 0
	v_mov_b32_e32 v7, 0
	;; [unrolled: 1-line block ×3, first 2 shown]
	s_mov_b32 s9, 0
	s_and_b32 s10, s10, 3
	s_cmp_eq_u32 s10, 0
	s_cbranch_scc1 .LBB15_1183
.LBB15_1181:
	s_lshl_b32 s0, s9, 3
	s_mul_i32 s6, s9, 12
	s_add_u32 s0, s2, s0
	s_addc_u32 s1, s3, 0
	s_add_u32 s0, s0, 0xc4
	s_addc_u32 s1, s1, 0
	;; [unrolled: 2-line block ×3, first 2 shown]
	.p2align	6
.LBB15_1182:                            ; =>This Inner Loop Header: Depth=1
	s_clause 0x1
	s_load_dwordx2 s[14:15], s[6:7], 0x4
	s_load_dword s9, s[6:7], 0xc
	s_load_dwordx2 s[16:17], s[0:1], 0x0
	s_add_u32 s6, s6, 12
	s_addc_u32 s7, s7, 0
	s_add_u32 s0, s0, 8
	s_addc_u32 s1, s1, 0
	s_add_i32 s10, s10, -1
	s_cmp_lg_u32 s10, 0
	s_waitcnt vmcnt(0) lgkmcnt(0)
	v_mul_hi_u32 v3, s15, v1
	v_add_nc_u32_e32 v3, v1, v3
	v_lshrrev_b32_e32 v3, s9, v3
	v_mul_lo_u32 v5, v3, s14
	v_sub_nc_u32_e32 v5, v1, v5
	v_mad_u64_u32 v[0:1], null, v5, s16, v[0:1]
	v_mad_u64_u32 v[7:8], null, v5, s17, v[7:8]
	v_mov_b32_e32 v1, v3
	s_cbranch_scc1 .LBB15_1182
.LBB15_1183:
	s_andn2_b32 vcc_lo, exec_lo, s8
	s_cbranch_vccnz .LBB15_1186
; %bb.1184:
	s_clause 0x1
	s_load_dwordx4 s[8:11], s[2:3], 0x4
	s_load_dwordx2 s[0:1], s[2:3], 0xc4
	s_cmp_lt_u32 s24, 2
	s_waitcnt lgkmcnt(0)
	v_mul_hi_u32 v0, s9, v15
	v_add_nc_u32_e32 v0, v15, v0
	v_lshrrev_b32_e32 v1, s10, v0
	v_mul_lo_u32 v0, v1, s8
	s_waitcnt vmcnt(0)
	v_sub_nc_u32_e32 v3, v15, v0
	v_mul_lo_u32 v0, v3, s0
	v_mul_lo_u32 v7, v3, s1
	s_cbranch_scc1 .LBB15_1186
; %bb.1185:
	s_clause 0x1
	s_load_dwordx4 s[8:11], s[2:3], 0x10
	s_load_dwordx2 s[0:1], s[2:3], 0xcc
	s_waitcnt lgkmcnt(0)
	v_mul_hi_u32 v3, s9, v1
	v_add_nc_u32_e32 v3, v1, v3
	v_lshrrev_b32_e32 v3, s10, v3
	v_mul_lo_u32 v3, v3, s8
	v_sub_nc_u32_e32 v3, v1, v3
	v_mad_u64_u32 v[0:1], null, v3, s0, v[0:1]
	v_mad_u64_u32 v[7:8], null, v3, s1, v[7:8]
.LBB15_1186:
	s_clause 0x1
	s_load_dwordx4 s[8:11], s[2:3], 0x148
	s_load_dword s3, s[4:5], 0x160
	s_waitcnt lgkmcnt(0)
	v_add_co_u32 v12, s0, s10, v13
	v_add_co_ci_u32_e64 v13, null, s11, 0, s0
	s_bfe_u32 s0, s3, 0x80010
	s_cmp_lt_i32 s0, 11
	s_cbranch_scc1 .LBB15_1193
; %bb.1187:
	s_and_b32 s1, 0xffff, s0
	s_mov_b32 s4, 0
	s_cmp_gt_i32 s1, 25
	s_cbranch_scc0 .LBB15_1195
; %bb.1188:
	s_cmp_gt_i32 s1, 28
	s_cbranch_scc0 .LBB15_1196
; %bb.1189:
	;; [unrolled: 3-line block ×4, first 2 shown]
	s_cmp_eq_u32 s1, 46
	s_mov_b32 s6, 0
	s_cbranch_scc0 .LBB15_1201
; %bb.1192:
	global_load_dword v1, v[12:13], off
	s_mov_b32 s2, 0
	s_mov_b32 s5, -1
	s_waitcnt vmcnt(0)
	v_lshlrev_b32_e32 v1, 16, v1
	s_branch .LBB15_1203
.LBB15_1193:
	s_mov_b32 s5, 0
	s_mov_b32 s2, s12
                                        ; implicit-def: $vgpr1
	s_cbranch_execnz .LBB15_1266
.LBB15_1194:
	s_andn2_b32 vcc_lo, exec_lo, s5
	s_cbranch_vccz .LBB15_1311
	s_branch .LBB15_1820
.LBB15_1195:
	s_mov_b32 s5, 0
	s_mov_b32 s2, 0
                                        ; implicit-def: $vgpr1
	s_cbranch_execnz .LBB15_1231
	s_branch .LBB15_1262
.LBB15_1196:
	s_mov_b32 s6, -1
	s_mov_b32 s5, 0
	s_mov_b32 s2, 0
                                        ; implicit-def: $vgpr1
	s_branch .LBB15_1212
.LBB15_1197:
	s_mov_b32 s5, 0
	s_mov_b32 s2, 0
                                        ; implicit-def: $vgpr1
	s_cbranch_execnz .LBB15_1208
	s_branch .LBB15_1211
.LBB15_1198:
	s_mov_b32 s6, -1
	s_mov_b32 s5, 0
	s_mov_b32 s2, 0
	s_branch .LBB15_1202
.LBB15_1199:
	s_andn2_saveexec_b32 s11, s11
	s_cbranch_execz .LBB15_1042
.LBB15_1200:
	v_add_f32_e64 v0, 0x46000000, |v1|
	s_andn2_b32 s10, s10, exec_lo
	v_and_b32_e32 v0, 0xff, v0
	v_cmp_ne_u32_e32 vcc_lo, 0, v0
	s_and_b32 s12, vcc_lo, exec_lo
	s_or_b32 s10, s10, s12
	s_or_b32 exec_lo, exec_lo, s11
	v_mov_b32_e32 v2, 0
	s_and_saveexec_b32 s11, s10
	s_cbranch_execnz .LBB15_1043
	s_branch .LBB15_1044
.LBB15_1201:
	s_mov_b32 s2, -1
	s_mov_b32 s5, 0
.LBB15_1202:
                                        ; implicit-def: $vgpr1
.LBB15_1203:
	s_and_b32 vcc_lo, exec_lo, s6
	s_cbranch_vccz .LBB15_1206
; %bb.1204:
	s_cmp_eq_u32 s1, 44
	s_cbranch_scc0 .LBB15_1207
; %bb.1205:
	global_load_ubyte v1, v[12:13], off
	s_mov_b32 s2, 0
	s_mov_b32 s5, -1
	s_waitcnt vmcnt(0)
	v_lshlrev_b32_e32 v3, 23, v1
	v_cmp_ne_u32_e32 vcc_lo, 0xff, v1
	v_cndmask_b32_e32 v3, 0x7f800001, v3, vcc_lo
	v_cmp_ne_u32_e32 vcc_lo, 0, v1
	v_cndmask_b32_e32 v1, 0x400000, v3, vcc_lo
.LBB15_1206:
	s_branch .LBB15_1211
.LBB15_1207:
	s_mov_b32 s2, -1
                                        ; implicit-def: $vgpr1
	s_branch .LBB15_1211
.LBB15_1208:
	s_cmp_eq_u32 s1, 29
	s_cbranch_scc0 .LBB15_1210
; %bb.1209:
	global_load_dwordx2 v[14:15], v[12:13], off
	s_mov_b32 s2, 0
	s_mov_b32 s5, -1
	s_mov_b32 s6, 0
	s_waitcnt vmcnt(0)
	v_ffbh_u32_e32 v1, v15
	v_min_u32_e32 v1, 32, v1
	v_lshlrev_b64 v[14:15], v1, v[14:15]
	v_sub_nc_u32_e32 v1, 32, v1
	v_min_u32_e32 v3, 1, v14
	v_or_b32_e32 v3, v15, v3
	v_cvt_f32_u32_e32 v3, v3
	v_ldexp_f32 v1, v3, v1
	s_branch .LBB15_1212
.LBB15_1210:
	s_mov_b32 s2, -1
                                        ; implicit-def: $vgpr1
.LBB15_1211:
	s_mov_b32 s6, 0
.LBB15_1212:
	s_and_b32 vcc_lo, exec_lo, s6
	s_cbranch_vccz .LBB15_1230
; %bb.1213:
	s_cmp_lt_i32 s1, 27
	s_cbranch_scc1 .LBB15_1216
; %bb.1214:
	s_cmp_gt_i32 s1, 27
	s_cbranch_scc0 .LBB15_1217
; %bb.1215:
	global_load_dword v1, v[12:13], off
	s_mov_b32 s5, 0
	s_waitcnt vmcnt(0)
	v_cvt_f32_u32_e32 v1, v1
	s_branch .LBB15_1218
.LBB15_1216:
	s_mov_b32 s5, -1
                                        ; implicit-def: $vgpr1
	s_branch .LBB15_1221
.LBB15_1217:
	s_mov_b32 s5, -1
                                        ; implicit-def: $vgpr1
.LBB15_1218:
	s_andn2_b32 vcc_lo, exec_lo, s5
	s_cbranch_vccnz .LBB15_1220
; %bb.1219:
	global_load_ushort v1, v[12:13], off
	s_waitcnt vmcnt(0)
	v_cvt_f32_u32_e32 v1, v1
.LBB15_1220:
	s_mov_b32 s5, 0
.LBB15_1221:
	s_andn2_b32 vcc_lo, exec_lo, s5
	s_cbranch_vccnz .LBB15_1229
; %bb.1222:
	global_load_ubyte v3, v[12:13], off
	s_mov_b32 s5, 0
	s_mov_b32 s6, exec_lo
	s_waitcnt vmcnt(0)
	v_cmpx_lt_i16_e32 0x7f, v3
	s_xor_b32 s6, exec_lo, s6
	s_cbranch_execz .LBB15_1242
; %bb.1223:
	s_mov_b32 s5, -1
	s_mov_b32 s7, exec_lo
	v_cmpx_eq_u16_e32 0x80, v3
; %bb.1224:
	s_xor_b32 s5, exec_lo, -1
; %bb.1225:
	s_or_b32 exec_lo, exec_lo, s7
	s_and_b32 s5, s5, exec_lo
	s_or_saveexec_b32 s6, s6
	v_mov_b32_e32 v1, 0x7f800001
	s_xor_b32 exec_lo, exec_lo, s6
	s_cbranch_execnz .LBB15_1243
.LBB15_1226:
	s_or_b32 exec_lo, exec_lo, s6
	s_and_saveexec_b32 s6, s5
	s_cbranch_execz .LBB15_1228
.LBB15_1227:
	v_and_b32_e32 v1, 0xffff, v3
	v_lshlrev_b32_e32 v3, 24, v3
	v_and_b32_e32 v5, 7, v1
	v_bfe_u32 v14, v1, 3, 4
	v_and_b32_e32 v3, 0x80000000, v3
	v_ffbh_u32_e32 v8, v5
	v_cmp_eq_u32_e32 vcc_lo, 0, v14
	v_min_u32_e32 v8, 32, v8
	v_subrev_nc_u32_e32 v10, 28, v8
	v_sub_nc_u32_e32 v8, 29, v8
	v_lshlrev_b32_e32 v1, v10, v1
	v_cndmask_b32_e32 v8, v14, v8, vcc_lo
	v_and_b32_e32 v1, 7, v1
	v_cndmask_b32_e32 v1, v5, v1, vcc_lo
	v_lshl_add_u32 v5, v8, 23, 0x3b800000
	v_lshlrev_b32_e32 v1, 20, v1
	v_or3_b32 v1, v3, v5, v1
.LBB15_1228:
	s_or_b32 exec_lo, exec_lo, s6
.LBB15_1229:
	s_mov_b32 s5, -1
.LBB15_1230:
	s_branch .LBB15_1262
.LBB15_1231:
	s_cmp_gt_i32 s1, 22
	s_cbranch_scc0 .LBB15_1241
; %bb.1232:
	s_cmp_lt_i32 s1, 24
	s_cbranch_scc1 .LBB15_1244
; %bb.1233:
	s_cmp_gt_i32 s1, 24
	s_cbranch_scc0 .LBB15_1245
; %bb.1234:
	global_load_ubyte v3, v[12:13], off
	s_mov_b32 s5, exec_lo
	s_waitcnt vmcnt(0)
	v_cmpx_lt_i16_e32 0x7f, v3
	s_xor_b32 s5, exec_lo, s5
	s_cbranch_execz .LBB15_1256
; %bb.1235:
	s_mov_b32 s4, -1
	s_mov_b32 s6, exec_lo
	v_cmpx_eq_u16_e32 0x80, v3
; %bb.1236:
	s_xor_b32 s4, exec_lo, -1
; %bb.1237:
	s_or_b32 exec_lo, exec_lo, s6
	s_and_b32 s4, s4, exec_lo
	s_or_saveexec_b32 s5, s5
	v_mov_b32_e32 v1, 0x7f800001
	s_xor_b32 exec_lo, exec_lo, s5
	s_cbranch_execnz .LBB15_1257
.LBB15_1238:
	s_or_b32 exec_lo, exec_lo, s5
	s_and_saveexec_b32 s5, s4
	s_cbranch_execz .LBB15_1240
.LBB15_1239:
	v_and_b32_e32 v1, 0xffff, v3
	v_lshlrev_b32_e32 v3, 24, v3
	v_and_b32_e32 v5, 3, v1
	v_bfe_u32 v14, v1, 2, 5
	v_and_b32_e32 v3, 0x80000000, v3
	v_ffbh_u32_e32 v8, v5
	v_cmp_eq_u32_e32 vcc_lo, 0, v14
	v_min_u32_e32 v8, 32, v8
	v_subrev_nc_u32_e32 v10, 29, v8
	v_sub_nc_u32_e32 v8, 30, v8
	v_lshlrev_b32_e32 v1, v10, v1
	v_cndmask_b32_e32 v8, v14, v8, vcc_lo
	v_and_b32_e32 v1, 3, v1
	v_cndmask_b32_e32 v1, v5, v1, vcc_lo
	v_lshl_add_u32 v5, v8, 23, 0x37800000
	v_lshlrev_b32_e32 v1, 21, v1
	v_or3_b32 v1, v3, v5, v1
.LBB15_1240:
	s_or_b32 exec_lo, exec_lo, s5
	s_mov_b32 s4, 0
	s_branch .LBB15_1246
.LBB15_1241:
                                        ; implicit-def: $vgpr1
	s_mov_b32 s4, 0
	s_branch .LBB15_1252
.LBB15_1242:
	s_or_saveexec_b32 s6, s6
	v_mov_b32_e32 v1, 0x7f800001
	s_xor_b32 exec_lo, exec_lo, s6
	s_cbranch_execz .LBB15_1226
.LBB15_1243:
	v_cmp_ne_u16_e32 vcc_lo, 0, v3
	v_mov_b32_e32 v1, 0
	s_andn2_b32 s5, s5, exec_lo
	s_and_b32 s7, vcc_lo, exec_lo
	s_or_b32 s5, s5, s7
	s_or_b32 exec_lo, exec_lo, s6
	s_and_saveexec_b32 s6, s5
	s_cbranch_execnz .LBB15_1227
	s_branch .LBB15_1228
.LBB15_1244:
	s_mov_b32 s4, -1
                                        ; implicit-def: $vgpr1
	s_branch .LBB15_1249
.LBB15_1245:
	s_mov_b32 s4, -1
                                        ; implicit-def: $vgpr1
.LBB15_1246:
	s_and_b32 vcc_lo, exec_lo, s4
	s_cbranch_vccz .LBB15_1248
; %bb.1247:
	global_load_ubyte v1, v[12:13], off
	s_waitcnt vmcnt(0)
	v_lshlrev_b32_e32 v1, 24, v1
	v_and_b32_e32 v3, 0x7f000000, v1
	v_ffbh_u32_e32 v5, v3
	v_add_nc_u32_e32 v10, 0x1000000, v3
	v_cmp_ne_u32_e32 vcc_lo, 0, v3
	v_min_u32_e32 v5, 32, v5
	v_sub_nc_u32_e64 v5, v5, 4 clamp
	v_lshlrev_b32_e32 v8, v5, v3
	v_lshlrev_b32_e32 v5, 23, v5
	v_lshrrev_b32_e32 v8, 4, v8
	v_sub_nc_u32_e32 v5, v8, v5
	v_ashrrev_i32_e32 v8, 8, v10
	v_add_nc_u32_e32 v5, 0x3c000000, v5
	v_and_or_b32 v5, 0x7f800000, v8, v5
	v_cndmask_b32_e32 v3, 0, v5, vcc_lo
	v_and_or_b32 v1, 0x80000000, v1, v3
.LBB15_1248:
	s_mov_b32 s4, 0
.LBB15_1249:
	s_andn2_b32 vcc_lo, exec_lo, s4
	s_cbranch_vccnz .LBB15_1251
; %bb.1250:
	global_load_ubyte v1, v[12:13], off
	s_waitcnt vmcnt(0)
	v_lshlrev_b32_e32 v3, 25, v1
	v_lshlrev_b16 v1, 8, v1
	v_lshrrev_b32_e32 v5, 4, v3
	v_and_or_b32 v8, 0x7f00, v1, 0.5
	v_cmp_gt_u32_e32 vcc_lo, 0x8000000, v3
	v_bfe_i32 v1, v1, 0, 16
	v_or_b32_e32 v5, 0x70000000, v5
	v_add_f32_e32 v8, -0.5, v8
	v_mul_f32_e32 v5, 0x7800000, v5
	v_cndmask_b32_e32 v3, v5, v8, vcc_lo
	v_and_or_b32 v1, 0x80000000, v1, v3
.LBB15_1251:
	s_mov_b32 s5, -1
	s_mov_b32 s4, 0
	s_cbranch_execnz .LBB15_1262
.LBB15_1252:
	s_cmp_gt_i32 s1, 14
	s_cbranch_scc0 .LBB15_1255
; %bb.1253:
	s_cmp_eq_u32 s1, 15
	s_cbranch_scc0 .LBB15_1258
; %bb.1254:
	global_load_ushort v1, v[12:13], off
	s_mov_b32 s2, 0
	s_mov_b32 s5, -1
	s_waitcnt vmcnt(0)
	v_lshlrev_b32_e32 v1, 16, v1
	s_branch .LBB15_1260
.LBB15_1255:
	s_mov_b32 s4, -1
	s_branch .LBB15_1259
.LBB15_1256:
	s_or_saveexec_b32 s5, s5
	v_mov_b32_e32 v1, 0x7f800001
	s_xor_b32 exec_lo, exec_lo, s5
	s_cbranch_execz .LBB15_1238
.LBB15_1257:
	v_cmp_ne_u16_e32 vcc_lo, 0, v3
	v_mov_b32_e32 v1, 0
	s_andn2_b32 s4, s4, exec_lo
	s_and_b32 s6, vcc_lo, exec_lo
	s_or_b32 s4, s4, s6
	s_or_b32 exec_lo, exec_lo, s5
	s_and_saveexec_b32 s5, s4
	s_cbranch_execnz .LBB15_1239
	s_branch .LBB15_1240
.LBB15_1258:
	s_mov_b32 s2, -1
.LBB15_1259:
                                        ; implicit-def: $vgpr1
.LBB15_1260:
	s_and_b32 vcc_lo, exec_lo, s4
	s_mov_b32 s4, 0
	s_cbranch_vccz .LBB15_1262
; %bb.1261:
	s_cmp_lg_u32 s1, 11
	s_mov_b32 s4, -1
	s_cselect_b32 s2, -1, 0
.LBB15_1262:
	s_and_b32 vcc_lo, exec_lo, s2
	s_mov_b32 s2, s12
	s_cbranch_vccnz .LBB15_1333
; %bb.1263:
	s_andn2_b32 vcc_lo, exec_lo, s4
	s_cbranch_vccnz .LBB15_1265
.LBB15_1264:
	global_load_ubyte v1, v[12:13], off
	s_mov_b32 s5, -1
	s_waitcnt vmcnt(0)
	v_cmp_ne_u16_e32 vcc_lo, 0, v1
	v_cndmask_b32_e64 v1, 0, 1.0, vcc_lo
.LBB15_1265:
	s_branch .LBB15_1194
.LBB15_1266:
	s_and_b32 s0, 0xffff, s0
	s_cmp_lt_i32 s0, 5
	s_cbranch_scc1 .LBB15_1271
; %bb.1267:
	s_cmp_lt_i32 s0, 8
	s_cbranch_scc1 .LBB15_1272
; %bb.1268:
	;; [unrolled: 3-line block ×3, first 2 shown]
	s_cmp_gt_i32 s0, 9
	s_cbranch_scc0 .LBB15_1274
; %bb.1270:
	global_load_dwordx2 v[14:15], v[12:13], off
	s_mov_b32 s1, 0
	s_waitcnt vmcnt(0)
	v_cvt_f32_f64_e32 v1, v[14:15]
	s_branch .LBB15_1275
.LBB15_1271:
                                        ; implicit-def: $vgpr1
	s_branch .LBB15_1292
.LBB15_1272:
                                        ; implicit-def: $vgpr1
	s_branch .LBB15_1281
.LBB15_1273:
	s_mov_b32 s1, -1
                                        ; implicit-def: $vgpr1
	s_branch .LBB15_1278
.LBB15_1274:
	s_mov_b32 s1, -1
                                        ; implicit-def: $vgpr1
.LBB15_1275:
	s_andn2_b32 vcc_lo, exec_lo, s1
	s_cbranch_vccnz .LBB15_1277
; %bb.1276:
	global_load_dword v1, v[12:13], off
.LBB15_1277:
	s_mov_b32 s1, 0
.LBB15_1278:
	s_andn2_b32 vcc_lo, exec_lo, s1
	s_cbranch_vccnz .LBB15_1280
; %bb.1279:
	global_load_dword v1, v[12:13], off
	s_waitcnt vmcnt(0)
	v_cvt_f32_f16_e32 v1, v1
.LBB15_1280:
	s_cbranch_execnz .LBB15_1291
.LBB15_1281:
	s_cmp_lt_i32 s0, 6
	s_cbranch_scc1 .LBB15_1284
; %bb.1282:
	s_cmp_gt_i32 s0, 6
	s_cbranch_scc0 .LBB15_1285
; %bb.1283:
	global_load_dwordx2 v[14:15], v[12:13], off
	s_mov_b32 s1, 0
	s_waitcnt vmcnt(0)
	v_cvt_f32_f64_e32 v1, v[14:15]
	s_branch .LBB15_1286
.LBB15_1284:
	s_mov_b32 s1, -1
                                        ; implicit-def: $vgpr1
	s_branch .LBB15_1289
.LBB15_1285:
	s_mov_b32 s1, -1
                                        ; implicit-def: $vgpr1
.LBB15_1286:
	s_andn2_b32 vcc_lo, exec_lo, s1
	s_cbranch_vccnz .LBB15_1288
; %bb.1287:
	global_load_dword v1, v[12:13], off
.LBB15_1288:
	s_mov_b32 s1, 0
.LBB15_1289:
	s_andn2_b32 vcc_lo, exec_lo, s1
	s_cbranch_vccnz .LBB15_1291
; %bb.1290:
	global_load_ushort v1, v[12:13], off
	s_waitcnt vmcnt(0)
	v_cvt_f32_f16_e32 v1, v1
.LBB15_1291:
	s_cbranch_execnz .LBB15_1310
.LBB15_1292:
	s_cmp_lt_i32 s0, 2
	s_cbranch_scc1 .LBB15_1296
; %bb.1293:
	s_cmp_lt_i32 s0, 3
	s_cbranch_scc1 .LBB15_1297
; %bb.1294:
	s_cmp_gt_i32 s0, 3
	s_cbranch_scc0 .LBB15_1298
; %bb.1295:
	global_load_dwordx2 v[14:15], v[12:13], off
	s_mov_b32 s1, 0
	s_waitcnt vmcnt(0)
	v_xor_b32_e32 v1, v14, v15
	v_ffbh_i32_e32 v3, v15
	v_ashrrev_i32_e32 v1, 31, v1
	v_add_nc_u32_e32 v3, -1, v3
	v_add_nc_u32_e32 v1, 32, v1
	v_min_u32_e32 v1, v3, v1
	v_lshlrev_b64 v[14:15], v1, v[14:15]
	v_sub_nc_u32_e32 v1, 32, v1
	v_min_u32_e32 v3, 1, v14
	v_or_b32_e32 v3, v15, v3
	v_cvt_f32_i32_e32 v3, v3
	v_ldexp_f32 v1, v3, v1
	s_branch .LBB15_1299
.LBB15_1296:
                                        ; implicit-def: $vgpr1
	s_branch .LBB15_1305
.LBB15_1297:
	s_mov_b32 s1, -1
                                        ; implicit-def: $vgpr1
	s_branch .LBB15_1302
.LBB15_1298:
	s_mov_b32 s1, -1
                                        ; implicit-def: $vgpr1
.LBB15_1299:
	s_andn2_b32 vcc_lo, exec_lo, s1
	s_cbranch_vccnz .LBB15_1301
; %bb.1300:
	global_load_dword v1, v[12:13], off
	s_waitcnt vmcnt(0)
	v_cvt_f32_i32_e32 v1, v1
.LBB15_1301:
	s_mov_b32 s1, 0
.LBB15_1302:
	s_andn2_b32 vcc_lo, exec_lo, s1
	s_cbranch_vccnz .LBB15_1304
; %bb.1303:
	global_load_sshort v1, v[12:13], off
	s_waitcnt vmcnt(0)
	v_cvt_f32_i32_e32 v1, v1
.LBB15_1304:
	s_cbranch_execnz .LBB15_1310
.LBB15_1305:
	s_cmp_gt_i32 s0, 0
	s_mov_b32 s0, 0
	s_cbranch_scc0 .LBB15_1307
; %bb.1306:
	global_load_sbyte v1, v[12:13], off
	s_waitcnt vmcnt(0)
	v_cvt_f32_i32_e32 v1, v1
	s_branch .LBB15_1308
.LBB15_1307:
	s_mov_b32 s0, -1
                                        ; implicit-def: $vgpr1
.LBB15_1308:
	s_andn2_b32 vcc_lo, exec_lo, s0
	s_cbranch_vccnz .LBB15_1310
; %bb.1309:
	global_load_ubyte v1, v[12:13], off
	s_waitcnt vmcnt(0)
	v_cvt_f32_ubyte0_e32 v1, v1
.LBB15_1310:
.LBB15_1311:
	s_waitcnt vmcnt(0)
	v_mov_b32_e32 v5, 0
	s_mov_b32 s4, exec_lo
	v_cmpx_neq_f32_e64 0x7f800000, |v1|
	s_cbranch_execz .LBB15_1321
; %bb.1312:
                                        ; implicit-def: $vgpr5
	s_mov_b32 s1, exec_lo
	v_cmpx_nlt_f32_e64 |v1|, 0.5
	s_xor_b32 s5, exec_lo, s1
	s_cbranch_execz .LBB15_1318
; %bb.1313:
	v_and_b32_e32 v3, 0x7fffffff, v1
                                        ; implicit-def: $vgpr8
                                        ; implicit-def: $vgpr5
	s_mov_b32 s1, exec_lo
	v_cmpx_ngt_f32_e64 0x48000000, |v1|
	s_xor_b32 s6, exec_lo, s1
	s_cbranch_execz .LBB15_1315
; %bb.1314:
	s_mov_b32 s0, 0x7fffff
	v_mov_b32_e32 v14, 0
	v_and_or_b32 v5, v3, s0, 0x800000
	v_lshrrev_b32_e32 v8, 23, v3
	v_mad_u64_u32 v[12:13], null, 0xfe5163ab, v5, 0
	v_add_nc_u32_e32 v8, 0xffffff88, v8
	v_cmp_lt_u32_e32 vcc_lo, 63, v8
	v_mad_u64_u32 v[15:16], null, 0x3c439041, v5, v[13:14]
	v_cndmask_b32_e64 v10, 0, 0xffffffc0, vcc_lo
	v_mov_b32_e32 v13, v16
	v_add_nc_u32_e32 v8, v10, v8
	v_mad_u64_u32 v[16:17], null, 0xdb629599, v5, v[13:14]
	v_cmp_lt_u32_e64 s0, 31, v8
	v_cndmask_b32_e64 v10, 0, 0xffffffe0, s0
	v_mov_b32_e32 v13, v17
	v_cndmask_b32_e32 v12, v16, v12, vcc_lo
	v_add_nc_u32_e32 v8, v10, v8
	v_mad_u64_u32 v[17:18], null, 0xf534ddc0, v5, v[13:14]
	v_cmp_lt_u32_e64 s1, 31, v8
	v_mov_b32_e32 v13, v18
	v_mad_u64_u32 v[18:19], null, 0xfc2757d1, v5, v[13:14]
	v_mov_b32_e32 v13, v19
	v_mad_u64_u32 v[19:20], null, 0x4e441529, v5, v[13:14]
	v_mov_b32_e32 v13, v20
	v_cndmask_b32_e32 v10, v19, v17, vcc_lo
	v_mad_u64_u32 v[13:14], null, 0xa2f9836e, v5, v[13:14]
	v_cndmask_b32_e64 v5, 0, 0xffffffe0, s1
	v_add_nc_u32_e32 v5, v5, v8
	v_cndmask_b32_e32 v13, v13, v18, vcc_lo
	v_cndmask_b32_e32 v14, v14, v19, vcc_lo
	;; [unrolled: 1-line block ×4, first 2 shown]
	v_cmp_eq_u32_e32 vcc_lo, 0, v5
	v_cndmask_b32_e64 v15, v13, v10, s0
	v_cndmask_b32_e64 v13, v14, v13, s0
	;; [unrolled: 1-line block ×3, first 2 shown]
	v_sub_nc_u32_e32 v14, 32, v5
	v_cndmask_b32_e64 v17, v18, v8, s0
	v_cndmask_b32_e64 v8, v8, v12, s0
	;; [unrolled: 1-line block ×6, first 2 shown]
	v_alignbit_b32 v18, v13, v15, v14
	v_alignbit_b32 v16, v15, v10, v14
	;; [unrolled: 1-line block ×3, first 2 shown]
	v_cndmask_b32_e32 v5, v18, v13, vcc_lo
	v_cndmask_b32_e32 v12, v16, v15, vcc_lo
	;; [unrolled: 1-line block ×3, first 2 shown]
	v_bfe_u32 v13, v5, 29, 1
	v_alignbit_b32 v15, v5, v12, 30
	v_alignbit_b32 v12, v12, v10, 30
	;; [unrolled: 1-line block ×3, first 2 shown]
	v_sub_nc_u32_e32 v16, 0, v13
	v_xor_b32_e32 v15, v15, v16
	v_xor_b32_e32 v10, v12, v16
	;; [unrolled: 1-line block ×3, first 2 shown]
	v_lshrrev_b32_e32 v16, 29, v5
	v_ffbh_u32_e32 v14, v15
	v_min_u32_e32 v14, 32, v14
	v_sub_nc_u32_e32 v12, 31, v14
	v_lshlrev_b32_e32 v17, 23, v14
	v_alignbit_b32 v15, v15, v10, v12
	v_alignbit_b32 v8, v10, v8, v12
	v_lshlrev_b32_e32 v10, 31, v16
	v_alignbit_b32 v12, v15, v8, 9
	v_or_b32_e32 v16, 0.5, v10
	v_lshrrev_b32_e32 v15, 9, v15
	v_or_b32_e32 v10, 0x33000000, v10
	v_ffbh_u32_e32 v18, v12
	v_sub_nc_u32_e32 v16, v16, v17
	v_min_u32_e32 v17, 32, v18
	v_or_b32_e32 v15, v15, v16
	v_not_b32_e32 v16, v17
	v_mul_f32_e32 v18, 0x3fc90fda, v15
	v_add_lshl_u32 v14, v17, v14, 23
	v_alignbit_b32 v8, v12, v8, v16
	v_fma_f32 v12, 0x3fc90fda, v15, -v18
	v_sub_nc_u32_e32 v10, v10, v14
	v_lshrrev_b32_e32 v8, 9, v8
	v_fmamk_f32 v12, v15, 0x33a22168, v12
	v_or_b32_e32 v8, v10, v8
	v_fmac_f32_e32 v12, 0x3fc90fda, v8
	v_lshrrev_b32_e32 v8, 30, v5
	v_add_f32_e32 v5, v18, v12
	v_add_nc_u32_e32 v8, v13, v8
.LBB15_1315:
	s_andn2_saveexec_b32 s0, s6
; %bb.1316:
	v_mul_f32_e64 v5, 0x3f22f983, |v1|
	v_rndne_f32_e32 v8, v5
	v_fma_f32 v5, 0xbfc90fda, v8, |v1|
	v_fmamk_f32 v5, v8, 0xb3a22168, v5
	v_fmamk_f32 v5, v8, 0xa7c234c4, v5
	v_cvt_i32_f32_e32 v8, v8
; %bb.1317:
	s_or_b32 exec_lo, exec_lo, s0
	v_mul_f32_e32 v10, v5, v5
	s_mov_b32 s0, 0xb94c1982
	s_mov_b32 s1, 0x37d75334
	v_and_b32_e32 v14, 1, v8
	v_lshlrev_b32_e32 v8, 30, v8
	v_fmaak_f32 v12, s0, v10, 0x3c0881c4
	v_fmaak_f32 v13, s1, v10, 0xbab64f3b
	v_xor_b32_e32 v3, v3, v1
	v_cmp_eq_u32_e32 vcc_lo, 0, v14
	v_and_b32_e32 v8, 0x80000000, v8
	v_fmaak_f32 v12, v10, v12, 0xbe2aaa9d
	v_fmaak_f32 v13, v10, v13, 0x3d2aabf7
	v_mul_f32_e32 v12, v10, v12
	v_fmaak_f32 v13, v10, v13, 0xbf000004
	v_fmac_f32_e32 v5, v5, v12
	v_fma_f32 v10, v10, v13, 1.0
	v_cndmask_b32_e32 v5, v10, v5, vcc_lo
	v_cmp_class_f32_e64 vcc_lo, v1, 0x1f8
	v_xor3_b32 v3, v3, v8, v5
	v_cndmask_b32_e32 v3, 0x7fc00000, v3, vcc_lo
	v_div_scale_f32 v5, null, v1, v1, v3
	v_rcp_f32_e32 v8, v5
	v_fma_f32 v10, -v5, v8, 1.0
	v_fmac_f32_e32 v8, v10, v8
	v_div_scale_f32 v10, vcc_lo, v3, v1, v3
	v_mul_f32_e32 v12, v10, v8
	v_fma_f32 v13, -v5, v12, v10
	v_fmac_f32_e32 v12, v13, v8
	v_fma_f32 v5, -v5, v12, v10
	v_div_fmas_f32 v5, v5, v8, v12
	v_div_fixup_f32 v5, v5, v1, v3
                                        ; implicit-def: $vgpr1
.LBB15_1318:
	s_andn2_saveexec_b32 s0, s5
	s_cbranch_execz .LBB15_1320
; %bb.1319:
	v_mul_f32_e32 v1, v1, v1
	s_mov_b32 s1, 0x2f309231
	v_fmaak_f32 v3, s1, v1, 0xb2d7322b
	v_fmaak_f32 v3, v1, v3, 0x3638ef1d
	;; [unrolled: 1-line block ×5, first 2 shown]
	v_fma_f32 v5, v1, v3, 1.0
.LBB15_1320:
	s_or_b32 exec_lo, exec_lo, s0
.LBB15_1321:
	s_or_b32 exec_lo, exec_lo, s4
	v_add_co_u32 v10, s1, s10, v11
	s_lshr_b32 s0, s3, 16
	v_add_co_ci_u32_e64 v11, null, s11, 0, s1
	s_and_b32 s4, s0, 0xff
	s_cmp_lt_i32 s4, 11
	s_cbranch_scc1 .LBB15_1328
; %bb.1322:
	s_and_b32 s0, 0xffff, s4
	s_mov_b32 s5, 0
	s_cmp_gt_i32 s0, 25
	s_cbranch_scc0 .LBB15_1330
; %bb.1323:
	s_cmp_gt_i32 s0, 28
	s_cbranch_scc0 .LBB15_1331
; %bb.1324:
	;; [unrolled: 3-line block ×4, first 2 shown]
	s_cmp_eq_u32 s0, 46
	s_mov_b32 s7, 0
	s_cbranch_scc0 .LBB15_1337
; %bb.1327:
	global_load_dword v1, v[10:11], off
	s_mov_b32 s1, 0
	s_mov_b32 s6, -1
	s_waitcnt vmcnt(0)
	v_lshlrev_b32_e32 v1, 16, v1
	s_branch .LBB15_1339
.LBB15_1328:
	s_mov_b32 s6, 0
                                        ; implicit-def: $vgpr1
	s_cbranch_execnz .LBB15_1404
.LBB15_1329:
	s_andn2_b32 vcc_lo, exec_lo, s6
	s_cbranch_vccnz .LBB15_1820
	s_branch .LBB15_1451
.LBB15_1330:
	s_mov_b32 s6, 0
	s_mov_b32 s1, 0
                                        ; implicit-def: $vgpr1
	s_cbranch_execnz .LBB15_1368
	s_branch .LBB15_1400
.LBB15_1331:
	s_mov_b32 s7, -1
	s_mov_b32 s6, 0
	s_mov_b32 s1, 0
                                        ; implicit-def: $vgpr1
	s_branch .LBB15_1349
.LBB15_1332:
	s_mov_b32 s7, -1
	s_mov_b32 s6, 0
	s_mov_b32 s1, 0
                                        ; implicit-def: $vgpr1
	s_branch .LBB15_1344
.LBB15_1333:
	s_or_b32 s2, s12, exec_lo
	s_trap 2
	s_cbranch_execz .LBB15_1264
	s_branch .LBB15_1265
.LBB15_1334:
	s_mov_b32 s7, -1
	s_mov_b32 s6, 0
	s_mov_b32 s1, 0
	s_branch .LBB15_1338
.LBB15_1335:
	s_andn2_saveexec_b32 s12, s12
	s_cbranch_execz .LBB15_1054
.LBB15_1336:
	v_add_f32_e64 v0, 0x42800000, |v1|
	s_andn2_b32 s11, s11, exec_lo
	v_and_b32_e32 v0, 0xff, v0
	v_cmp_ne_u32_e32 vcc_lo, 0, v0
	s_and_b32 s13, vcc_lo, exec_lo
	s_or_b32 s11, s11, s13
	s_or_b32 exec_lo, exec_lo, s12
	v_mov_b32_e32 v2, 0
	s_and_saveexec_b32 s12, s11
	s_cbranch_execnz .LBB15_1055
	s_branch .LBB15_1056
.LBB15_1337:
	s_mov_b32 s1, -1
	s_mov_b32 s6, 0
.LBB15_1338:
                                        ; implicit-def: $vgpr1
.LBB15_1339:
	s_and_b32 vcc_lo, exec_lo, s7
	s_cbranch_vccz .LBB15_1343
; %bb.1340:
	s_cmp_eq_u32 s0, 44
	s_cbranch_scc0 .LBB15_1342
; %bb.1341:
	global_load_ubyte v1, v[10:11], off
	s_mov_b32 s1, 0
	s_mov_b32 s6, -1
	s_waitcnt vmcnt(0)
	v_lshlrev_b32_e32 v3, 23, v1
	v_cmp_ne_u32_e32 vcc_lo, 0xff, v1
	v_cndmask_b32_e32 v3, 0x7f800001, v3, vcc_lo
	v_cmp_ne_u32_e32 vcc_lo, 0, v1
	v_cndmask_b32_e32 v1, 0x400000, v3, vcc_lo
	s_branch .LBB15_1343
.LBB15_1342:
	s_mov_b32 s1, -1
                                        ; implicit-def: $vgpr1
.LBB15_1343:
	s_mov_b32 s7, 0
.LBB15_1344:
	s_and_b32 vcc_lo, exec_lo, s7
	s_cbranch_vccz .LBB15_1348
; %bb.1345:
	s_cmp_eq_u32 s0, 29
	s_cbranch_scc0 .LBB15_1347
; %bb.1346:
	global_load_dwordx2 v[12:13], v[10:11], off
	s_mov_b32 s1, 0
	s_mov_b32 s6, -1
	s_mov_b32 s7, 0
	s_waitcnt vmcnt(0)
	v_ffbh_u32_e32 v1, v13
	v_min_u32_e32 v1, 32, v1
	v_lshlrev_b64 v[12:13], v1, v[12:13]
	v_sub_nc_u32_e32 v1, 32, v1
	v_min_u32_e32 v3, 1, v12
	v_or_b32_e32 v3, v13, v3
	v_cvt_f32_u32_e32 v3, v3
	v_ldexp_f32 v1, v3, v1
	s_branch .LBB15_1349
.LBB15_1347:
	s_mov_b32 s1, -1
                                        ; implicit-def: $vgpr1
.LBB15_1348:
	s_mov_b32 s7, 0
.LBB15_1349:
	s_and_b32 vcc_lo, exec_lo, s7
	s_cbranch_vccz .LBB15_1367
; %bb.1350:
	s_cmp_lt_i32 s0, 27
	s_cbranch_scc1 .LBB15_1353
; %bb.1351:
	s_cmp_gt_i32 s0, 27
	s_cbranch_scc0 .LBB15_1354
; %bb.1352:
	global_load_dword v1, v[10:11], off
	s_mov_b32 s6, 0
	s_waitcnt vmcnt(0)
	v_cvt_f32_u32_e32 v1, v1
	s_branch .LBB15_1355
.LBB15_1353:
	s_mov_b32 s6, -1
                                        ; implicit-def: $vgpr1
	s_branch .LBB15_1358
.LBB15_1354:
	s_mov_b32 s6, -1
                                        ; implicit-def: $vgpr1
.LBB15_1355:
	s_andn2_b32 vcc_lo, exec_lo, s6
	s_cbranch_vccnz .LBB15_1357
; %bb.1356:
	global_load_ushort v1, v[10:11], off
	s_waitcnt vmcnt(0)
	v_cvt_f32_u32_e32 v1, v1
.LBB15_1357:
	s_mov_b32 s6, 0
.LBB15_1358:
	s_andn2_b32 vcc_lo, exec_lo, s6
	s_cbranch_vccnz .LBB15_1366
; %bb.1359:
	global_load_ubyte v3, v[10:11], off
	s_mov_b32 s6, 0
	s_mov_b32 s7, exec_lo
	s_waitcnt vmcnt(0)
	v_cmpx_lt_i16_e32 0x7f, v3
	s_xor_b32 s7, exec_lo, s7
	s_cbranch_execz .LBB15_1379
; %bb.1360:
	s_mov_b32 s6, -1
	s_mov_b32 s14, exec_lo
	v_cmpx_eq_u16_e32 0x80, v3
; %bb.1361:
	s_xor_b32 s6, exec_lo, -1
; %bb.1362:
	s_or_b32 exec_lo, exec_lo, s14
	s_and_b32 s6, s6, exec_lo
	s_or_saveexec_b32 s7, s7
	v_mov_b32_e32 v1, 0x7f800001
	s_xor_b32 exec_lo, exec_lo, s7
	s_cbranch_execnz .LBB15_1380
.LBB15_1363:
	s_or_b32 exec_lo, exec_lo, s7
	s_and_saveexec_b32 s7, s6
	s_cbranch_execz .LBB15_1365
.LBB15_1364:
	v_and_b32_e32 v1, 0xffff, v3
	v_lshlrev_b32_e32 v3, 24, v3
	v_and_b32_e32 v8, 7, v1
	v_bfe_u32 v14, v1, 3, 4
	v_and_b32_e32 v3, 0x80000000, v3
	v_ffbh_u32_e32 v12, v8
	v_cmp_eq_u32_e32 vcc_lo, 0, v14
	v_min_u32_e32 v12, 32, v12
	v_subrev_nc_u32_e32 v13, 28, v12
	v_sub_nc_u32_e32 v12, 29, v12
	v_lshlrev_b32_e32 v1, v13, v1
	v_cndmask_b32_e32 v12, v14, v12, vcc_lo
	v_and_b32_e32 v1, 7, v1
	v_cndmask_b32_e32 v1, v8, v1, vcc_lo
	v_lshl_add_u32 v8, v12, 23, 0x3b800000
	v_lshlrev_b32_e32 v1, 20, v1
	v_or3_b32 v1, v3, v8, v1
.LBB15_1365:
	s_or_b32 exec_lo, exec_lo, s7
.LBB15_1366:
	s_mov_b32 s6, -1
.LBB15_1367:
	s_branch .LBB15_1400
.LBB15_1368:
	s_cmp_gt_i32 s0, 22
	s_cbranch_scc0 .LBB15_1378
; %bb.1369:
	s_cmp_lt_i32 s0, 24
	s_cbranch_scc1 .LBB15_1381
; %bb.1370:
	s_cmp_gt_i32 s0, 24
	s_cbranch_scc0 .LBB15_1382
; %bb.1371:
	global_load_ubyte v3, v[10:11], off
	s_mov_b32 s6, exec_lo
	s_waitcnt vmcnt(0)
	v_cmpx_lt_i16_e32 0x7f, v3
	s_xor_b32 s6, exec_lo, s6
	s_cbranch_execz .LBB15_1394
; %bb.1372:
	s_mov_b32 s5, -1
	s_mov_b32 s7, exec_lo
	v_cmpx_eq_u16_e32 0x80, v3
; %bb.1373:
	s_xor_b32 s5, exec_lo, -1
; %bb.1374:
	s_or_b32 exec_lo, exec_lo, s7
	s_and_b32 s5, s5, exec_lo
	s_or_saveexec_b32 s6, s6
	v_mov_b32_e32 v1, 0x7f800001
	s_xor_b32 exec_lo, exec_lo, s6
	s_cbranch_execnz .LBB15_1395
.LBB15_1375:
	s_or_b32 exec_lo, exec_lo, s6
	s_and_saveexec_b32 s6, s5
	s_cbranch_execz .LBB15_1377
.LBB15_1376:
	v_and_b32_e32 v1, 0xffff, v3
	v_lshlrev_b32_e32 v3, 24, v3
	v_and_b32_e32 v8, 3, v1
	v_bfe_u32 v14, v1, 2, 5
	v_and_b32_e32 v3, 0x80000000, v3
	v_ffbh_u32_e32 v12, v8
	v_cmp_eq_u32_e32 vcc_lo, 0, v14
	v_min_u32_e32 v12, 32, v12
	v_subrev_nc_u32_e32 v13, 29, v12
	v_sub_nc_u32_e32 v12, 30, v12
	v_lshlrev_b32_e32 v1, v13, v1
	v_cndmask_b32_e32 v12, v14, v12, vcc_lo
	v_and_b32_e32 v1, 3, v1
	v_cndmask_b32_e32 v1, v8, v1, vcc_lo
	v_lshl_add_u32 v8, v12, 23, 0x37800000
	v_lshlrev_b32_e32 v1, 21, v1
	v_or3_b32 v1, v3, v8, v1
.LBB15_1377:
	s_or_b32 exec_lo, exec_lo, s6
	s_mov_b32 s5, 0
	s_branch .LBB15_1383
.LBB15_1378:
	s_mov_b32 s5, -1
                                        ; implicit-def: $vgpr1
	s_branch .LBB15_1389
.LBB15_1379:
	s_or_saveexec_b32 s7, s7
	v_mov_b32_e32 v1, 0x7f800001
	s_xor_b32 exec_lo, exec_lo, s7
	s_cbranch_execz .LBB15_1363
.LBB15_1380:
	v_cmp_ne_u16_e32 vcc_lo, 0, v3
	v_mov_b32_e32 v1, 0
	s_andn2_b32 s6, s6, exec_lo
	s_and_b32 s14, vcc_lo, exec_lo
	s_or_b32 s6, s6, s14
	s_or_b32 exec_lo, exec_lo, s7
	s_and_saveexec_b32 s7, s6
	s_cbranch_execnz .LBB15_1364
	s_branch .LBB15_1365
.LBB15_1381:
	s_mov_b32 s5, -1
                                        ; implicit-def: $vgpr1
	s_branch .LBB15_1386
.LBB15_1382:
	s_mov_b32 s5, -1
                                        ; implicit-def: $vgpr1
.LBB15_1383:
	s_and_b32 vcc_lo, exec_lo, s5
	s_cbranch_vccz .LBB15_1385
; %bb.1384:
	global_load_ubyte v1, v[10:11], off
	s_waitcnt vmcnt(0)
	v_lshlrev_b32_e32 v1, 24, v1
	v_and_b32_e32 v3, 0x7f000000, v1
	v_ffbh_u32_e32 v8, v3
	v_add_nc_u32_e32 v13, 0x1000000, v3
	v_cmp_ne_u32_e32 vcc_lo, 0, v3
	v_min_u32_e32 v8, 32, v8
	v_sub_nc_u32_e64 v8, v8, 4 clamp
	v_lshlrev_b32_e32 v12, v8, v3
	v_lshlrev_b32_e32 v8, 23, v8
	v_lshrrev_b32_e32 v12, 4, v12
	v_sub_nc_u32_e32 v8, v12, v8
	v_ashrrev_i32_e32 v12, 8, v13
	v_add_nc_u32_e32 v8, 0x3c000000, v8
	v_and_or_b32 v8, 0x7f800000, v12, v8
	v_cndmask_b32_e32 v3, 0, v8, vcc_lo
	v_and_or_b32 v1, 0x80000000, v1, v3
.LBB15_1385:
	s_mov_b32 s5, 0
.LBB15_1386:
	s_andn2_b32 vcc_lo, exec_lo, s5
	s_cbranch_vccnz .LBB15_1388
; %bb.1387:
	global_load_ubyte v1, v[10:11], off
	s_waitcnt vmcnt(0)
	v_lshlrev_b32_e32 v3, 25, v1
	v_lshlrev_b16 v1, 8, v1
	v_lshrrev_b32_e32 v8, 4, v3
	v_and_or_b32 v12, 0x7f00, v1, 0.5
	v_cmp_gt_u32_e32 vcc_lo, 0x8000000, v3
	v_bfe_i32 v1, v1, 0, 16
	v_or_b32_e32 v8, 0x70000000, v8
	v_add_f32_e32 v12, -0.5, v12
	v_mul_f32_e32 v8, 0x7800000, v8
	v_cndmask_b32_e32 v3, v8, v12, vcc_lo
	v_and_or_b32 v1, 0x80000000, v1, v3
.LBB15_1388:
	s_mov_b32 s5, 0
	s_mov_b32 s6, -1
.LBB15_1389:
	s_andn2_b32 vcc_lo, exec_lo, s5
	s_mov_b32 s5, 0
	s_cbranch_vccnz .LBB15_1400
; %bb.1390:
	s_cmp_gt_i32 s0, 14
	s_cbranch_scc0 .LBB15_1393
; %bb.1391:
	s_cmp_eq_u32 s0, 15
	s_cbranch_scc0 .LBB15_1396
; %bb.1392:
	global_load_ushort v1, v[10:11], off
	s_mov_b32 s1, 0
	s_mov_b32 s6, -1
	s_waitcnt vmcnt(0)
	v_lshlrev_b32_e32 v1, 16, v1
	s_branch .LBB15_1398
.LBB15_1393:
	s_mov_b32 s5, -1
	s_branch .LBB15_1397
.LBB15_1394:
	s_or_saveexec_b32 s6, s6
	v_mov_b32_e32 v1, 0x7f800001
	s_xor_b32 exec_lo, exec_lo, s6
	s_cbranch_execz .LBB15_1375
.LBB15_1395:
	v_cmp_ne_u16_e32 vcc_lo, 0, v3
	v_mov_b32_e32 v1, 0
	s_andn2_b32 s5, s5, exec_lo
	s_and_b32 s7, vcc_lo, exec_lo
	s_or_b32 s5, s5, s7
	s_or_b32 exec_lo, exec_lo, s6
	s_and_saveexec_b32 s6, s5
	s_cbranch_execnz .LBB15_1376
	s_branch .LBB15_1377
.LBB15_1396:
	s_mov_b32 s1, -1
.LBB15_1397:
                                        ; implicit-def: $vgpr1
.LBB15_1398:
	s_and_b32 vcc_lo, exec_lo, s5
	s_mov_b32 s5, 0
	s_cbranch_vccz .LBB15_1400
; %bb.1399:
	s_cmp_lg_u32 s0, 11
	s_mov_b32 s5, -1
	s_cselect_b32 s1, -1, 0
.LBB15_1400:
	s_and_b32 vcc_lo, exec_lo, s1
	s_cbranch_vccnz .LBB15_1473
; %bb.1401:
	s_andn2_b32 vcc_lo, exec_lo, s5
	s_cbranch_vccnz .LBB15_1403
.LBB15_1402:
	global_load_ubyte v1, v[10:11], off
	s_mov_b32 s6, -1
	s_waitcnt vmcnt(0)
	v_cmp_ne_u16_e32 vcc_lo, 0, v1
	v_cndmask_b32_e64 v1, 0, 1.0, vcc_lo
.LBB15_1403:
	s_branch .LBB15_1329
.LBB15_1404:
	s_and_b32 s0, 0xffff, s4
	s_cmp_lt_i32 s0, 5
	s_cbranch_scc1 .LBB15_1409
; %bb.1405:
	s_cmp_lt_i32 s0, 8
	s_cbranch_scc1 .LBB15_1410
; %bb.1406:
	;; [unrolled: 3-line block ×3, first 2 shown]
	s_cmp_gt_i32 s0, 9
	s_cbranch_scc0 .LBB15_1412
; %bb.1408:
	global_load_dwordx2 v[12:13], v[10:11], off
	s_mov_b32 s1, 0
	s_waitcnt vmcnt(0)
	v_cvt_f32_f64_e32 v1, v[12:13]
	s_branch .LBB15_1413
.LBB15_1409:
                                        ; implicit-def: $vgpr1
	s_branch .LBB15_1431
.LBB15_1410:
	s_mov_b32 s1, -1
                                        ; implicit-def: $vgpr1
	s_branch .LBB15_1419
.LBB15_1411:
	s_mov_b32 s1, -1
                                        ; implicit-def: $vgpr1
	s_branch .LBB15_1416
.LBB15_1412:
	s_mov_b32 s1, -1
                                        ; implicit-def: $vgpr1
.LBB15_1413:
	s_andn2_b32 vcc_lo, exec_lo, s1
	s_cbranch_vccnz .LBB15_1415
; %bb.1414:
	global_load_dword v1, v[10:11], off
.LBB15_1415:
	s_mov_b32 s1, 0
.LBB15_1416:
	s_andn2_b32 vcc_lo, exec_lo, s1
	s_cbranch_vccnz .LBB15_1418
; %bb.1417:
	global_load_dword v1, v[10:11], off
	s_waitcnt vmcnt(0)
	v_cvt_f32_f16_e32 v1, v1
.LBB15_1418:
	s_mov_b32 s1, 0
.LBB15_1419:
	s_andn2_b32 vcc_lo, exec_lo, s1
	s_cbranch_vccnz .LBB15_1430
; %bb.1420:
	s_cmp_lt_i32 s0, 6
	s_cbranch_scc1 .LBB15_1423
; %bb.1421:
	s_cmp_gt_i32 s0, 6
	s_cbranch_scc0 .LBB15_1424
; %bb.1422:
	global_load_dwordx2 v[12:13], v[10:11], off
	s_mov_b32 s1, 0
	s_waitcnt vmcnt(0)
	v_cvt_f32_f64_e32 v1, v[12:13]
	s_branch .LBB15_1425
.LBB15_1423:
	s_mov_b32 s1, -1
                                        ; implicit-def: $vgpr1
	s_branch .LBB15_1428
.LBB15_1424:
	s_mov_b32 s1, -1
                                        ; implicit-def: $vgpr1
.LBB15_1425:
	s_andn2_b32 vcc_lo, exec_lo, s1
	s_cbranch_vccnz .LBB15_1427
; %bb.1426:
	global_load_dword v1, v[10:11], off
.LBB15_1427:
	s_mov_b32 s1, 0
.LBB15_1428:
	s_andn2_b32 vcc_lo, exec_lo, s1
	s_cbranch_vccnz .LBB15_1430
; %bb.1429:
	global_load_ushort v1, v[10:11], off
	s_waitcnt vmcnt(0)
	v_cvt_f32_f16_e32 v1, v1
.LBB15_1430:
	s_cbranch_execnz .LBB15_1450
.LBB15_1431:
	s_cmp_lt_i32 s0, 2
	s_cbranch_scc1 .LBB15_1435
; %bb.1432:
	s_cmp_lt_i32 s0, 3
	s_cbranch_scc1 .LBB15_1436
; %bb.1433:
	s_cmp_gt_i32 s0, 3
	s_cbranch_scc0 .LBB15_1437
; %bb.1434:
	global_load_dwordx2 v[12:13], v[10:11], off
	s_mov_b32 s1, 0
	s_waitcnt vmcnt(0)
	v_xor_b32_e32 v1, v12, v13
	v_ffbh_i32_e32 v3, v13
	v_ashrrev_i32_e32 v1, 31, v1
	v_add_nc_u32_e32 v3, -1, v3
	v_add_nc_u32_e32 v1, 32, v1
	v_min_u32_e32 v1, v3, v1
	v_lshlrev_b64 v[12:13], v1, v[12:13]
	v_sub_nc_u32_e32 v1, 32, v1
	v_min_u32_e32 v3, 1, v12
	v_or_b32_e32 v3, v13, v3
	v_cvt_f32_i32_e32 v3, v3
	v_ldexp_f32 v1, v3, v1
	s_branch .LBB15_1438
.LBB15_1435:
	s_mov_b32 s1, -1
                                        ; implicit-def: $vgpr1
	s_branch .LBB15_1444
.LBB15_1436:
	s_mov_b32 s1, -1
                                        ; implicit-def: $vgpr1
	s_branch .LBB15_1441
.LBB15_1437:
	s_mov_b32 s1, -1
                                        ; implicit-def: $vgpr1
.LBB15_1438:
	s_andn2_b32 vcc_lo, exec_lo, s1
	s_cbranch_vccnz .LBB15_1440
; %bb.1439:
	global_load_dword v1, v[10:11], off
	s_waitcnt vmcnt(0)
	v_cvt_f32_i32_e32 v1, v1
.LBB15_1440:
	s_mov_b32 s1, 0
.LBB15_1441:
	s_andn2_b32 vcc_lo, exec_lo, s1
	s_cbranch_vccnz .LBB15_1443
; %bb.1442:
	global_load_sshort v1, v[10:11], off
	s_waitcnt vmcnt(0)
	v_cvt_f32_i32_e32 v1, v1
.LBB15_1443:
	s_mov_b32 s1, 0
.LBB15_1444:
	s_andn2_b32 vcc_lo, exec_lo, s1
	s_cbranch_vccnz .LBB15_1450
; %bb.1445:
	s_cmp_gt_i32 s0, 0
	s_mov_b32 s0, 0
	s_cbranch_scc0 .LBB15_1447
; %bb.1446:
	global_load_sbyte v1, v[10:11], off
	s_waitcnt vmcnt(0)
	v_cvt_f32_i32_e32 v1, v1
	s_branch .LBB15_1448
.LBB15_1447:
	s_mov_b32 s0, -1
                                        ; implicit-def: $vgpr1
.LBB15_1448:
	s_andn2_b32 vcc_lo, exec_lo, s0
	s_cbranch_vccnz .LBB15_1450
; %bb.1449:
	global_load_ubyte v1, v[10:11], off
	s_waitcnt vmcnt(0)
	v_cvt_f32_ubyte0_e32 v1, v1
.LBB15_1450:
.LBB15_1451:
	v_mov_b32_e32 v3, 0
	s_mov_b32 s5, exec_lo
	s_waitcnt vmcnt(0)
	v_cmpx_neq_f32_e64 0x7f800000, |v1|
	s_cbranch_execz .LBB15_1461
; %bb.1452:
                                        ; implicit-def: $vgpr3
	s_mov_b32 s1, exec_lo
	v_cmpx_nlt_f32_e64 |v1|, 0.5
	s_xor_b32 s6, exec_lo, s1
	s_cbranch_execz .LBB15_1458
; %bb.1453:
	v_and_b32_e32 v3, 0x7fffffff, v1
                                        ; implicit-def: $vgpr10
                                        ; implicit-def: $vgpr8
	s_mov_b32 s1, exec_lo
	v_cmpx_ngt_f32_e64 0x48000000, |v1|
	s_xor_b32 s7, exec_lo, s1
	s_cbranch_execz .LBB15_1455
; %bb.1454:
	s_mov_b32 s0, 0x7fffff
	v_mov_b32_e32 v12, 0
	v_and_or_b32 v8, v3, s0, 0x800000
	v_lshrrev_b32_e32 v17, 23, v3
	v_mad_u64_u32 v[10:11], null, 0xfe5163ab, v8, 0
	v_add_nc_u32_e32 v18, 0xffffff88, v17
	v_cmp_lt_u32_e32 vcc_lo, 63, v18
	v_mad_u64_u32 v[13:14], null, 0x3c439041, v8, v[11:12]
	v_cndmask_b32_e64 v19, 0, 0xffffffc0, vcc_lo
	v_mov_b32_e32 v11, v14
	v_add_nc_u32_e32 v19, v19, v18
	v_mad_u64_u32 v[14:15], null, 0xdb629599, v8, v[11:12]
	v_cmp_lt_u32_e64 s0, 31, v19
	v_cndmask_b32_e64 v20, 0, 0xffffffe0, s0
	v_mov_b32_e32 v11, v15
	v_cndmask_b32_e32 v10, v14, v10, vcc_lo
	v_mad_u64_u32 v[15:16], null, 0xf534ddc0, v8, v[11:12]
	v_mov_b32_e32 v11, v16
	v_cndmask_b32_e32 v13, v15, v13, vcc_lo
	v_mad_u64_u32 v[16:17], null, 0xfc2757d1, v8, v[11:12]
	v_cndmask_b32_e64 v10, v13, v10, s0
	v_mov_b32_e32 v11, v17
	v_mad_u64_u32 v[17:18], null, 0x4e441529, v8, v[11:12]
	v_mov_b32_e32 v11, v18
	v_add_nc_u32_e32 v18, v20, v19
	v_cndmask_b32_e32 v19, v17, v15, vcc_lo
	v_mad_u64_u32 v[11:12], null, 0xa2f9836e, v8, v[11:12]
	v_cmp_lt_u32_e64 s1, 31, v18
	v_cndmask_b32_e64 v8, 0, 0xffffffe0, s1
	v_cndmask_b32_e32 v11, v11, v16, vcc_lo
	v_cndmask_b32_e32 v12, v12, v17, vcc_lo
	;; [unrolled: 1-line block ×3, first 2 shown]
	v_add_nc_u32_e32 v8, v8, v18
	v_cndmask_b32_e64 v15, v11, v19, s0
	v_cndmask_b32_e64 v11, v12, v11, s0
	;; [unrolled: 1-line block ×4, first 2 shown]
	v_sub_nc_u32_e32 v17, 32, v8
	v_cmp_eq_u32_e32 vcc_lo, 0, v8
	v_cndmask_b32_e64 v11, v11, v15, s1
	v_cndmask_b32_e64 v15, v15, v12, s1
	;; [unrolled: 1-line block ×4, first 2 shown]
	v_alignbit_b32 v18, v11, v15, v17
	v_alignbit_b32 v14, v15, v12, v17
	;; [unrolled: 1-line block ×3, first 2 shown]
	v_cndmask_b32_e32 v8, v18, v11, vcc_lo
	v_cndmask_b32_e32 v11, v14, v15, vcc_lo
	;; [unrolled: 1-line block ×3, first 2 shown]
	v_bfe_u32 v13, v8, 29, 1
	v_alignbit_b32 v14, v8, v11, 30
	v_alignbit_b32 v11, v11, v12, 30
	;; [unrolled: 1-line block ×3, first 2 shown]
	v_sub_nc_u32_e32 v15, 0, v13
	v_xor_b32_e32 v14, v14, v15
	v_xor_b32_e32 v11, v11, v15
	;; [unrolled: 1-line block ×3, first 2 shown]
	v_lshrrev_b32_e32 v15, 29, v8
	v_ffbh_u32_e32 v16, v14
	v_min_u32_e32 v16, 32, v16
	v_sub_nc_u32_e32 v12, 31, v16
	v_lshlrev_b32_e32 v17, 23, v16
	v_alignbit_b32 v14, v14, v11, v12
	v_alignbit_b32 v10, v11, v10, v12
	v_lshlrev_b32_e32 v11, 31, v15
	v_alignbit_b32 v12, v14, v10, 9
	v_or_b32_e32 v15, 0.5, v11
	v_lshrrev_b32_e32 v14, 9, v14
	v_or_b32_e32 v11, 0x33000000, v11
	v_ffbh_u32_e32 v18, v12
	v_sub_nc_u32_e32 v15, v15, v17
	v_min_u32_e32 v17, 32, v18
	v_or_b32_e32 v14, v14, v15
	v_not_b32_e32 v15, v17
	v_mul_f32_e32 v18, 0x3fc90fda, v14
	v_add_lshl_u32 v16, v17, v16, 23
	v_alignbit_b32 v10, v12, v10, v15
	v_fma_f32 v12, 0x3fc90fda, v14, -v18
	v_sub_nc_u32_e32 v11, v11, v16
	v_lshrrev_b32_e32 v10, 9, v10
	v_fmamk_f32 v12, v14, 0x33a22168, v12
	v_or_b32_e32 v10, v11, v10
	v_fmac_f32_e32 v12, 0x3fc90fda, v10
	v_lshrrev_b32_e32 v10, 30, v8
	v_add_f32_e32 v8, v18, v12
	v_add_nc_u32_e32 v10, v13, v10
.LBB15_1455:
	s_andn2_saveexec_b32 s0, s7
; %bb.1456:
	v_mul_f32_e64 v8, 0x3f22f983, |v1|
	v_rndne_f32_e32 v10, v8
	v_fma_f32 v8, 0xbfc90fda, v10, |v1|
	v_fmamk_f32 v8, v10, 0xb3a22168, v8
	v_fmamk_f32 v8, v10, 0xa7c234c4, v8
	v_cvt_i32_f32_e32 v10, v10
; %bb.1457:
	s_or_b32 exec_lo, exec_lo, s0
	v_mul_f32_e32 v11, v8, v8
	s_mov_b32 s0, 0xb94c1982
	s_mov_b32 s1, 0x37d75334
	v_and_b32_e32 v14, 1, v10
	v_lshlrev_b32_e32 v10, 30, v10
	v_fmaak_f32 v12, s0, v11, 0x3c0881c4
	v_fmaak_f32 v13, s1, v11, 0xbab64f3b
	v_xor_b32_e32 v3, v3, v1
	v_cmp_eq_u32_e32 vcc_lo, 0, v14
	v_and_b32_e32 v10, 0x80000000, v10
	v_fmaak_f32 v12, v11, v12, 0xbe2aaa9d
	v_fmaak_f32 v13, v11, v13, 0x3d2aabf7
	v_mul_f32_e32 v12, v11, v12
	v_fmaak_f32 v13, v11, v13, 0xbf000004
	v_fmac_f32_e32 v8, v8, v12
	v_fma_f32 v11, v11, v13, 1.0
	v_cndmask_b32_e32 v8, v11, v8, vcc_lo
	v_cmp_class_f32_e64 vcc_lo, v1, 0x1f8
	v_xor3_b32 v3, v3, v10, v8
	v_cndmask_b32_e32 v3, 0x7fc00000, v3, vcc_lo
	v_div_scale_f32 v8, null, v1, v1, v3
	v_rcp_f32_e32 v10, v8
	v_fma_f32 v11, -v8, v10, 1.0
	v_fmac_f32_e32 v10, v11, v10
	v_div_scale_f32 v11, vcc_lo, v3, v1, v3
	v_mul_f32_e32 v12, v11, v10
	v_fma_f32 v13, -v8, v12, v11
	v_fmac_f32_e32 v12, v13, v10
	v_fma_f32 v8, -v8, v12, v11
	v_div_fmas_f32 v8, v8, v10, v12
	v_div_fixup_f32 v3, v8, v1, v3
                                        ; implicit-def: $vgpr1
.LBB15_1458:
	s_andn2_saveexec_b32 s0, s6
	s_cbranch_execz .LBB15_1460
; %bb.1459:
	v_mul_f32_e32 v1, v1, v1
	s_mov_b32 s1, 0x2f309231
	v_fmaak_f32 v3, s1, v1, 0xb2d7322b
	v_fmaak_f32 v3, v1, v3, 0x3638ef1d
	;; [unrolled: 1-line block ×5, first 2 shown]
	v_fma_f32 v3, v1, v3, 1.0
.LBB15_1460:
	s_or_b32 exec_lo, exec_lo, s0
.LBB15_1461:
	s_or_b32 exec_lo, exec_lo, s5
	v_add_co_u32 v8, s0, s10, v9
	v_add_co_ci_u32_e64 v9, null, s11, 0, s0
	s_cmp_lt_i32 s4, 11
	s_cbranch_scc1 .LBB15_1468
; %bb.1462:
	s_and_b32 s0, 0xffff, s4
	s_mov_b32 s5, 0
	s_cmp_gt_i32 s0, 25
	s_cbranch_scc0 .LBB15_1470
; %bb.1463:
	s_cmp_gt_i32 s0, 28
	s_cbranch_scc0 .LBB15_1471
; %bb.1464:
	;; [unrolled: 3-line block ×4, first 2 shown]
	s_cmp_eq_u32 s0, 46
	s_mov_b32 s7, 0
	s_cbranch_scc0 .LBB15_1475
; %bb.1467:
	global_load_dword v1, v[8:9], off
	s_mov_b32 s1, 0
	s_mov_b32 s6, -1
	s_waitcnt vmcnt(0)
	v_lshlrev_b32_e32 v10, 16, v1
	s_branch .LBB15_1477
.LBB15_1468:
	s_mov_b32 s6, 0
                                        ; implicit-def: $vgpr10
	s_cbranch_execnz .LBB15_1543
.LBB15_1469:
	s_andn2_b32 vcc_lo, exec_lo, s6
	s_cbranch_vccnz .LBB15_1820
	s_branch .LBB15_1591
.LBB15_1470:
	s_mov_b32 s7, -1
	s_mov_b32 s6, 0
	s_mov_b32 s1, 0
                                        ; implicit-def: $vgpr10
	s_branch .LBB15_1506
.LBB15_1471:
	s_mov_b32 s7, -1
	s_mov_b32 s6, 0
	s_mov_b32 s1, 0
                                        ; implicit-def: $vgpr10
	s_branch .LBB15_1487
.LBB15_1472:
	s_mov_b32 s7, -1
	s_mov_b32 s6, 0
	s_mov_b32 s1, 0
                                        ; implicit-def: $vgpr10
	s_branch .LBB15_1482
.LBB15_1473:
	s_or_b32 s2, s2, exec_lo
	s_trap 2
	s_cbranch_execz .LBB15_1402
	s_branch .LBB15_1403
.LBB15_1474:
	s_mov_b32 s7, -1
	s_mov_b32 s6, 0
	s_mov_b32 s1, 0
	s_branch .LBB15_1476
.LBB15_1475:
	s_mov_b32 s1, -1
	s_mov_b32 s6, 0
.LBB15_1476:
                                        ; implicit-def: $vgpr10
.LBB15_1477:
	s_and_b32 vcc_lo, exec_lo, s7
	s_cbranch_vccz .LBB15_1481
; %bb.1478:
	s_cmp_eq_u32 s0, 44
	s_cbranch_scc0 .LBB15_1480
; %bb.1479:
	global_load_ubyte v1, v[8:9], off
	s_mov_b32 s1, 0
	s_mov_b32 s6, -1
	s_waitcnt vmcnt(0)
	v_lshlrev_b32_e32 v10, 23, v1
	v_cmp_ne_u32_e32 vcc_lo, 0xff, v1
	v_cndmask_b32_e32 v10, 0x7f800001, v10, vcc_lo
	v_cmp_ne_u32_e32 vcc_lo, 0, v1
	v_cndmask_b32_e32 v10, 0x400000, v10, vcc_lo
	s_branch .LBB15_1481
.LBB15_1480:
	s_mov_b32 s1, -1
                                        ; implicit-def: $vgpr10
.LBB15_1481:
	s_mov_b32 s7, 0
.LBB15_1482:
	s_and_b32 vcc_lo, exec_lo, s7
	s_cbranch_vccz .LBB15_1486
; %bb.1483:
	s_cmp_eq_u32 s0, 29
	s_cbranch_scc0 .LBB15_1485
; %bb.1484:
	global_load_dwordx2 v[10:11], v[8:9], off
	s_mov_b32 s1, 0
	s_mov_b32 s6, -1
	s_mov_b32 s7, 0
	s_waitcnt vmcnt(0)
	v_ffbh_u32_e32 v1, v11
	v_min_u32_e32 v1, 32, v1
	v_lshlrev_b64 v[10:11], v1, v[10:11]
	v_sub_nc_u32_e32 v1, 32, v1
	v_min_u32_e32 v10, 1, v10
	v_or_b32_e32 v10, v11, v10
	v_cvt_f32_u32_e32 v10, v10
	v_ldexp_f32 v10, v10, v1
	s_branch .LBB15_1487
.LBB15_1485:
	s_mov_b32 s1, -1
                                        ; implicit-def: $vgpr10
.LBB15_1486:
	s_mov_b32 s7, 0
.LBB15_1487:
	s_and_b32 vcc_lo, exec_lo, s7
	s_cbranch_vccz .LBB15_1505
; %bb.1488:
	s_cmp_lt_i32 s0, 27
	s_cbranch_scc1 .LBB15_1491
; %bb.1489:
	s_cmp_gt_i32 s0, 27
	s_cbranch_scc0 .LBB15_1492
; %bb.1490:
	global_load_dword v1, v[8:9], off
	s_mov_b32 s6, 0
	s_waitcnt vmcnt(0)
	v_cvt_f32_u32_e32 v10, v1
	s_branch .LBB15_1493
.LBB15_1491:
	s_mov_b32 s6, -1
                                        ; implicit-def: $vgpr10
	s_branch .LBB15_1496
.LBB15_1492:
	s_mov_b32 s6, -1
                                        ; implicit-def: $vgpr10
.LBB15_1493:
	s_andn2_b32 vcc_lo, exec_lo, s6
	s_cbranch_vccnz .LBB15_1495
; %bb.1494:
	global_load_ushort v1, v[8:9], off
	s_waitcnt vmcnt(0)
	v_cvt_f32_u32_e32 v10, v1
.LBB15_1495:
	s_mov_b32 s6, 0
.LBB15_1496:
	s_andn2_b32 vcc_lo, exec_lo, s6
	s_cbranch_vccnz .LBB15_1504
; %bb.1497:
	global_load_ubyte v1, v[8:9], off
	s_mov_b32 s6, 0
	s_mov_b32 s7, exec_lo
	s_waitcnt vmcnt(0)
	v_cmpx_lt_i16_e32 0x7f, v1
	s_xor_b32 s7, exec_lo, s7
	s_cbranch_execz .LBB15_1518
; %bb.1498:
	s_mov_b32 s6, -1
	s_mov_b32 s14, exec_lo
	v_cmpx_eq_u16_e32 0x80, v1
; %bb.1499:
	s_xor_b32 s6, exec_lo, -1
; %bb.1500:
	s_or_b32 exec_lo, exec_lo, s14
	s_and_b32 s6, s6, exec_lo
	s_or_saveexec_b32 s7, s7
	v_mov_b32_e32 v10, 0x7f800001
	s_xor_b32 exec_lo, exec_lo, s7
	s_cbranch_execnz .LBB15_1519
.LBB15_1501:
	s_or_b32 exec_lo, exec_lo, s7
	s_and_saveexec_b32 s7, s6
	s_cbranch_execz .LBB15_1503
.LBB15_1502:
	v_and_b32_e32 v10, 0xffff, v1
	v_lshlrev_b32_e32 v1, 24, v1
	v_and_b32_e32 v11, 7, v10
	v_bfe_u32 v14, v10, 3, 4
	v_and_b32_e32 v1, 0x80000000, v1
	v_ffbh_u32_e32 v12, v11
	v_cmp_eq_u32_e32 vcc_lo, 0, v14
	v_min_u32_e32 v12, 32, v12
	v_subrev_nc_u32_e32 v13, 28, v12
	v_sub_nc_u32_e32 v12, 29, v12
	v_lshlrev_b32_e32 v10, v13, v10
	v_cndmask_b32_e32 v12, v14, v12, vcc_lo
	v_and_b32_e32 v10, 7, v10
	v_cndmask_b32_e32 v10, v11, v10, vcc_lo
	v_lshl_add_u32 v11, v12, 23, 0x3b800000
	v_lshlrev_b32_e32 v10, 20, v10
	v_or3_b32 v10, v1, v11, v10
.LBB15_1503:
	s_or_b32 exec_lo, exec_lo, s7
.LBB15_1504:
	s_mov_b32 s6, -1
.LBB15_1505:
	s_mov_b32 s7, 0
.LBB15_1506:
	s_and_b32 vcc_lo, exec_lo, s7
	s_cbranch_vccz .LBB15_1539
; %bb.1507:
	s_cmp_gt_i32 s0, 22
	s_cbranch_scc0 .LBB15_1517
; %bb.1508:
	s_cmp_lt_i32 s0, 24
	s_cbranch_scc1 .LBB15_1520
; %bb.1509:
	s_cmp_gt_i32 s0, 24
	s_cbranch_scc0 .LBB15_1521
; %bb.1510:
	global_load_ubyte v1, v[8:9], off
	s_mov_b32 s6, exec_lo
	s_waitcnt vmcnt(0)
	v_cmpx_lt_i16_e32 0x7f, v1
	s_xor_b32 s6, exec_lo, s6
	s_cbranch_execz .LBB15_1533
; %bb.1511:
	s_mov_b32 s5, -1
	s_mov_b32 s7, exec_lo
	v_cmpx_eq_u16_e32 0x80, v1
; %bb.1512:
	s_xor_b32 s5, exec_lo, -1
; %bb.1513:
	s_or_b32 exec_lo, exec_lo, s7
	s_and_b32 s5, s5, exec_lo
	s_or_saveexec_b32 s6, s6
	v_mov_b32_e32 v10, 0x7f800001
	s_xor_b32 exec_lo, exec_lo, s6
	s_cbranch_execnz .LBB15_1534
.LBB15_1514:
	s_or_b32 exec_lo, exec_lo, s6
	s_and_saveexec_b32 s6, s5
	s_cbranch_execz .LBB15_1516
.LBB15_1515:
	v_and_b32_e32 v10, 0xffff, v1
	v_lshlrev_b32_e32 v1, 24, v1
	v_and_b32_e32 v11, 3, v10
	v_bfe_u32 v14, v10, 2, 5
	v_and_b32_e32 v1, 0x80000000, v1
	v_ffbh_u32_e32 v12, v11
	v_cmp_eq_u32_e32 vcc_lo, 0, v14
	v_min_u32_e32 v12, 32, v12
	v_subrev_nc_u32_e32 v13, 29, v12
	v_sub_nc_u32_e32 v12, 30, v12
	v_lshlrev_b32_e32 v10, v13, v10
	v_cndmask_b32_e32 v12, v14, v12, vcc_lo
	v_and_b32_e32 v10, 3, v10
	v_cndmask_b32_e32 v10, v11, v10, vcc_lo
	v_lshl_add_u32 v11, v12, 23, 0x37800000
	v_lshlrev_b32_e32 v10, 21, v10
	v_or3_b32 v10, v1, v11, v10
.LBB15_1516:
	s_or_b32 exec_lo, exec_lo, s6
	s_mov_b32 s5, 0
	s_branch .LBB15_1522
.LBB15_1517:
	s_mov_b32 s5, -1
                                        ; implicit-def: $vgpr10
	s_branch .LBB15_1528
.LBB15_1518:
	s_or_saveexec_b32 s7, s7
	v_mov_b32_e32 v10, 0x7f800001
	s_xor_b32 exec_lo, exec_lo, s7
	s_cbranch_execz .LBB15_1501
.LBB15_1519:
	v_cmp_ne_u16_e32 vcc_lo, 0, v1
	v_mov_b32_e32 v10, 0
	s_andn2_b32 s6, s6, exec_lo
	s_and_b32 s14, vcc_lo, exec_lo
	s_or_b32 s6, s6, s14
	s_or_b32 exec_lo, exec_lo, s7
	s_and_saveexec_b32 s7, s6
	s_cbranch_execnz .LBB15_1502
	s_branch .LBB15_1503
.LBB15_1520:
	s_mov_b32 s5, -1
                                        ; implicit-def: $vgpr10
	s_branch .LBB15_1525
.LBB15_1521:
	s_mov_b32 s5, -1
                                        ; implicit-def: $vgpr10
.LBB15_1522:
	s_and_b32 vcc_lo, exec_lo, s5
	s_cbranch_vccz .LBB15_1524
; %bb.1523:
	global_load_ubyte v1, v[8:9], off
	s_waitcnt vmcnt(0)
	v_lshlrev_b32_e32 v1, 24, v1
	v_and_b32_e32 v10, 0x7f000000, v1
	v_ffbh_u32_e32 v11, v10
	v_add_nc_u32_e32 v13, 0x1000000, v10
	v_cmp_ne_u32_e32 vcc_lo, 0, v10
	v_min_u32_e32 v11, 32, v11
	v_sub_nc_u32_e64 v11, v11, 4 clamp
	v_lshlrev_b32_e32 v12, v11, v10
	v_lshlrev_b32_e32 v11, 23, v11
	v_lshrrev_b32_e32 v12, 4, v12
	v_sub_nc_u32_e32 v11, v12, v11
	v_ashrrev_i32_e32 v12, 8, v13
	v_add_nc_u32_e32 v11, 0x3c000000, v11
	v_and_or_b32 v11, 0x7f800000, v12, v11
	v_cndmask_b32_e32 v10, 0, v11, vcc_lo
	v_and_or_b32 v10, 0x80000000, v1, v10
.LBB15_1524:
	s_mov_b32 s5, 0
.LBB15_1525:
	s_andn2_b32 vcc_lo, exec_lo, s5
	s_cbranch_vccnz .LBB15_1527
; %bb.1526:
	global_load_ubyte v1, v[8:9], off
	s_waitcnt vmcnt(0)
	v_lshlrev_b32_e32 v10, 25, v1
	v_lshlrev_b16 v1, 8, v1
	v_lshrrev_b32_e32 v11, 4, v10
	v_and_or_b32 v12, 0x7f00, v1, 0.5
	v_cmp_gt_u32_e32 vcc_lo, 0x8000000, v10
	v_bfe_i32 v1, v1, 0, 16
	v_or_b32_e32 v11, 0x70000000, v11
	v_add_f32_e32 v12, -0.5, v12
	v_mul_f32_e32 v11, 0x7800000, v11
	v_cndmask_b32_e32 v10, v11, v12, vcc_lo
	v_and_or_b32 v10, 0x80000000, v1, v10
.LBB15_1527:
	s_mov_b32 s5, 0
	s_mov_b32 s6, -1
.LBB15_1528:
	s_andn2_b32 vcc_lo, exec_lo, s5
	s_mov_b32 s5, 0
	s_cbranch_vccnz .LBB15_1539
; %bb.1529:
	s_cmp_gt_i32 s0, 14
	s_cbranch_scc0 .LBB15_1532
; %bb.1530:
	s_cmp_eq_u32 s0, 15
	s_cbranch_scc0 .LBB15_1535
; %bb.1531:
	global_load_ushort v1, v[8:9], off
	s_mov_b32 s1, 0
	s_mov_b32 s6, -1
	s_waitcnt vmcnt(0)
	v_lshlrev_b32_e32 v10, 16, v1
	s_branch .LBB15_1537
.LBB15_1532:
	s_mov_b32 s5, -1
	s_branch .LBB15_1536
.LBB15_1533:
	s_or_saveexec_b32 s6, s6
	v_mov_b32_e32 v10, 0x7f800001
	s_xor_b32 exec_lo, exec_lo, s6
	s_cbranch_execz .LBB15_1514
.LBB15_1534:
	v_cmp_ne_u16_e32 vcc_lo, 0, v1
	v_mov_b32_e32 v10, 0
	s_andn2_b32 s5, s5, exec_lo
	s_and_b32 s7, vcc_lo, exec_lo
	s_or_b32 s5, s5, s7
	s_or_b32 exec_lo, exec_lo, s6
	s_and_saveexec_b32 s6, s5
	s_cbranch_execnz .LBB15_1515
	s_branch .LBB15_1516
.LBB15_1535:
	s_mov_b32 s1, -1
.LBB15_1536:
                                        ; implicit-def: $vgpr10
.LBB15_1537:
	s_and_b32 vcc_lo, exec_lo, s5
	s_mov_b32 s5, 0
	s_cbranch_vccz .LBB15_1539
; %bb.1538:
	s_cmp_lg_u32 s0, 11
	s_mov_b32 s5, -1
	s_cselect_b32 s1, -1, 0
.LBB15_1539:
	s_and_b32 vcc_lo, exec_lo, s1
	s_cbranch_vccnz .LBB15_1612
; %bb.1540:
	s_andn2_b32 vcc_lo, exec_lo, s5
	s_cbranch_vccnz .LBB15_1542
.LBB15_1541:
	global_load_ubyte v1, v[8:9], off
	s_mov_b32 s6, -1
	s_waitcnt vmcnt(0)
	v_cmp_ne_u16_e32 vcc_lo, 0, v1
	v_cndmask_b32_e64 v10, 0, 1.0, vcc_lo
.LBB15_1542:
	s_branch .LBB15_1469
.LBB15_1543:
	s_and_b32 s0, 0xffff, s4
	s_cmp_lt_i32 s0, 5
	s_cbranch_scc1 .LBB15_1548
; %bb.1544:
	s_cmp_lt_i32 s0, 8
	s_cbranch_scc1 .LBB15_1549
; %bb.1545:
	;; [unrolled: 3-line block ×3, first 2 shown]
	s_cmp_gt_i32 s0, 9
	s_cbranch_scc0 .LBB15_1551
; %bb.1547:
	global_load_dwordx2 v[10:11], v[8:9], off
	s_mov_b32 s1, 0
	s_waitcnt vmcnt(0)
	v_cvt_f32_f64_e32 v10, v[10:11]
	s_branch .LBB15_1552
.LBB15_1548:
	s_mov_b32 s1, -1
                                        ; implicit-def: $vgpr10
	s_branch .LBB15_1570
.LBB15_1549:
	s_mov_b32 s1, -1
                                        ; implicit-def: $vgpr10
	s_branch .LBB15_1558
.LBB15_1550:
	s_mov_b32 s1, -1
                                        ; implicit-def: $vgpr10
	s_branch .LBB15_1555
.LBB15_1551:
	s_mov_b32 s1, -1
                                        ; implicit-def: $vgpr10
.LBB15_1552:
	s_andn2_b32 vcc_lo, exec_lo, s1
	s_cbranch_vccnz .LBB15_1554
; %bb.1553:
	global_load_dword v10, v[8:9], off
.LBB15_1554:
	s_mov_b32 s1, 0
.LBB15_1555:
	s_andn2_b32 vcc_lo, exec_lo, s1
	s_cbranch_vccnz .LBB15_1557
; %bb.1556:
	global_load_dword v1, v[8:9], off
	s_waitcnt vmcnt(0)
	v_cvt_f32_f16_e32 v10, v1
.LBB15_1557:
	s_mov_b32 s1, 0
.LBB15_1558:
	s_andn2_b32 vcc_lo, exec_lo, s1
	s_cbranch_vccnz .LBB15_1569
; %bb.1559:
	s_cmp_lt_i32 s0, 6
	s_cbranch_scc1 .LBB15_1562
; %bb.1560:
	s_cmp_gt_i32 s0, 6
	s_cbranch_scc0 .LBB15_1563
; %bb.1561:
	global_load_dwordx2 v[10:11], v[8:9], off
	s_mov_b32 s1, 0
	s_waitcnt vmcnt(0)
	v_cvt_f32_f64_e32 v10, v[10:11]
	s_branch .LBB15_1564
.LBB15_1562:
	s_mov_b32 s1, -1
                                        ; implicit-def: $vgpr10
	s_branch .LBB15_1567
.LBB15_1563:
	s_mov_b32 s1, -1
                                        ; implicit-def: $vgpr10
.LBB15_1564:
	s_andn2_b32 vcc_lo, exec_lo, s1
	s_cbranch_vccnz .LBB15_1566
; %bb.1565:
	global_load_dword v10, v[8:9], off
.LBB15_1566:
	s_mov_b32 s1, 0
.LBB15_1567:
	s_andn2_b32 vcc_lo, exec_lo, s1
	s_cbranch_vccnz .LBB15_1569
; %bb.1568:
	global_load_ushort v1, v[8:9], off
	s_waitcnt vmcnt(0)
	v_cvt_f32_f16_e32 v10, v1
.LBB15_1569:
	s_mov_b32 s1, 0
.LBB15_1570:
	s_andn2_b32 vcc_lo, exec_lo, s1
	s_cbranch_vccnz .LBB15_1590
; %bb.1571:
	s_cmp_lt_i32 s0, 2
	s_cbranch_scc1 .LBB15_1575
; %bb.1572:
	s_cmp_lt_i32 s0, 3
	s_cbranch_scc1 .LBB15_1576
; %bb.1573:
	s_cmp_gt_i32 s0, 3
	s_cbranch_scc0 .LBB15_1577
; %bb.1574:
	global_load_dwordx2 v[10:11], v[8:9], off
	s_mov_b32 s1, 0
	s_waitcnt vmcnt(0)
	v_xor_b32_e32 v1, v10, v11
	v_ffbh_i32_e32 v12, v11
	v_ashrrev_i32_e32 v1, 31, v1
	v_add_nc_u32_e32 v12, -1, v12
	v_add_nc_u32_e32 v1, 32, v1
	v_min_u32_e32 v1, v12, v1
	v_lshlrev_b64 v[10:11], v1, v[10:11]
	v_sub_nc_u32_e32 v1, 32, v1
	v_min_u32_e32 v10, 1, v10
	v_or_b32_e32 v10, v11, v10
	v_cvt_f32_i32_e32 v10, v10
	v_ldexp_f32 v10, v10, v1
	s_branch .LBB15_1578
.LBB15_1575:
	s_mov_b32 s1, -1
                                        ; implicit-def: $vgpr10
	s_branch .LBB15_1584
.LBB15_1576:
	s_mov_b32 s1, -1
                                        ; implicit-def: $vgpr10
	s_branch .LBB15_1581
.LBB15_1577:
	s_mov_b32 s1, -1
                                        ; implicit-def: $vgpr10
.LBB15_1578:
	s_andn2_b32 vcc_lo, exec_lo, s1
	s_cbranch_vccnz .LBB15_1580
; %bb.1579:
	global_load_dword v1, v[8:9], off
	s_waitcnt vmcnt(0)
	v_cvt_f32_i32_e32 v10, v1
.LBB15_1580:
	s_mov_b32 s1, 0
.LBB15_1581:
	s_andn2_b32 vcc_lo, exec_lo, s1
	s_cbranch_vccnz .LBB15_1583
; %bb.1582:
	global_load_sshort v1, v[8:9], off
	s_waitcnt vmcnt(0)
	v_cvt_f32_i32_e32 v10, v1
.LBB15_1583:
	s_mov_b32 s1, 0
.LBB15_1584:
	s_andn2_b32 vcc_lo, exec_lo, s1
	s_cbranch_vccnz .LBB15_1590
; %bb.1585:
	s_cmp_gt_i32 s0, 0
	s_mov_b32 s0, 0
	s_cbranch_scc0 .LBB15_1587
; %bb.1586:
	global_load_sbyte v1, v[8:9], off
	s_waitcnt vmcnt(0)
	v_cvt_f32_i32_e32 v10, v1
	s_branch .LBB15_1588
.LBB15_1587:
	s_mov_b32 s0, -1
                                        ; implicit-def: $vgpr10
.LBB15_1588:
	s_andn2_b32 vcc_lo, exec_lo, s0
	s_cbranch_vccnz .LBB15_1590
; %bb.1589:
	global_load_ubyte v1, v[8:9], off
	s_waitcnt vmcnt(0)
	v_cvt_f32_ubyte0_e32 v10, v1
.LBB15_1590:
.LBB15_1591:
	v_mov_b32_e32 v1, 0
	s_mov_b32 s5, exec_lo
	s_waitcnt vmcnt(0)
	v_cmpx_neq_f32_e64 0x7f800000, |v10|
	s_cbranch_execz .LBB15_1601
; %bb.1592:
                                        ; implicit-def: $vgpr1
	s_mov_b32 s1, exec_lo
	v_cmpx_nlt_f32_e64 |v10|, 0.5
	s_xor_b32 s6, exec_lo, s1
	s_cbranch_execz .LBB15_1598
; %bb.1593:
	v_and_b32_e32 v1, 0x7fffffff, v10
                                        ; implicit-def: $vgpr9
                                        ; implicit-def: $vgpr8
	s_mov_b32 s1, exec_lo
	v_cmpx_ngt_f32_e64 0x48000000, |v10|
	s_xor_b32 s7, exec_lo, s1
	s_cbranch_execz .LBB15_1595
; %bb.1594:
	s_mov_b32 s0, 0x7fffff
	v_mov_b32_e32 v12, 0
	v_and_or_b32 v19, v1, s0, 0x800000
	v_mad_u64_u32 v[8:9], null, 0xfe5163ab, v19, 0
	v_mov_b32_e32 v11, v9
	v_lshrrev_b32_e32 v9, 23, v1
	v_mad_u64_u32 v[13:14], null, 0x3c439041, v19, v[11:12]
	v_add_nc_u32_e32 v9, 0xffffff88, v9
	v_cmp_lt_u32_e32 vcc_lo, 63, v9
	v_mov_b32_e32 v11, v14
	v_cndmask_b32_e64 v18, 0, 0xffffffc0, vcc_lo
	v_mad_u64_u32 v[14:15], null, 0xdb629599, v19, v[11:12]
	v_add_nc_u32_e32 v9, v18, v9
	v_mov_b32_e32 v11, v15
	v_cmp_lt_u32_e64 s0, 31, v9
	v_cndmask_b32_e32 v8, v14, v8, vcc_lo
	v_mad_u64_u32 v[15:16], null, 0xf534ddc0, v19, v[11:12]
	v_cndmask_b32_e64 v20, 0, 0xffffffe0, s0
	v_add_nc_u32_e32 v9, v20, v9
	v_mov_b32_e32 v11, v16
	v_cndmask_b32_e32 v13, v15, v13, vcc_lo
	v_cmp_lt_u32_e64 s1, 31, v9
	v_mad_u64_u32 v[16:17], null, 0xfc2757d1, v19, v[11:12]
	v_cndmask_b32_e64 v8, v13, v8, s0
	v_mov_b32_e32 v11, v17
	v_mad_u64_u32 v[17:18], null, 0x4e441529, v19, v[11:12]
	v_mov_b32_e32 v11, v18
	v_cndmask_b32_e64 v18, 0, 0xffffffe0, s1
	v_mad_u64_u32 v[11:12], null, 0xa2f9836e, v19, v[11:12]
	v_cndmask_b32_e32 v19, v17, v15, vcc_lo
	v_add_nc_u32_e32 v9, v18, v9
	v_cndmask_b32_e32 v11, v11, v16, vcc_lo
	v_cndmask_b32_e32 v12, v12, v17, vcc_lo
	;; [unrolled: 1-line block ×3, first 2 shown]
	v_sub_nc_u32_e32 v17, 32, v9
	v_cmp_eq_u32_e32 vcc_lo, 0, v9
	v_cndmask_b32_e64 v15, v11, v19, s0
	v_cndmask_b32_e64 v11, v12, v11, s0
	;; [unrolled: 1-line block ×8, first 2 shown]
	v_alignbit_b32 v18, v11, v15, v17
	v_alignbit_b32 v14, v15, v12, v17
	;; [unrolled: 1-line block ×3, first 2 shown]
	v_cndmask_b32_e32 v9, v18, v11, vcc_lo
	v_cndmask_b32_e32 v11, v14, v15, vcc_lo
	;; [unrolled: 1-line block ×3, first 2 shown]
	v_bfe_u32 v13, v9, 29, 1
	v_alignbit_b32 v14, v9, v11, 30
	v_alignbit_b32 v11, v11, v12, 30
	;; [unrolled: 1-line block ×3, first 2 shown]
	v_sub_nc_u32_e32 v15, 0, v13
	v_xor_b32_e32 v14, v14, v15
	v_xor_b32_e32 v11, v11, v15
	;; [unrolled: 1-line block ×3, first 2 shown]
	v_lshrrev_b32_e32 v15, 29, v9
	v_lshrrev_b32_e32 v9, 30, v9
	v_ffbh_u32_e32 v16, v14
	v_add_nc_u32_e32 v9, v13, v9
	v_min_u32_e32 v16, 32, v16
	v_sub_nc_u32_e32 v12, 31, v16
	v_lshlrev_b32_e32 v17, 23, v16
	v_alignbit_b32 v14, v14, v11, v12
	v_alignbit_b32 v8, v11, v8, v12
	v_lshlrev_b32_e32 v11, 31, v15
	v_alignbit_b32 v12, v14, v8, 9
	v_or_b32_e32 v15, 0.5, v11
	v_lshrrev_b32_e32 v14, 9, v14
	v_or_b32_e32 v11, 0x33000000, v11
	v_ffbh_u32_e32 v18, v12
	v_sub_nc_u32_e32 v15, v15, v17
	v_min_u32_e32 v17, 32, v18
	v_or_b32_e32 v14, v14, v15
	v_not_b32_e32 v15, v17
	v_mul_f32_e32 v18, 0x3fc90fda, v14
	v_add_lshl_u32 v16, v17, v16, 23
	v_alignbit_b32 v8, v12, v8, v15
	v_fma_f32 v12, 0x3fc90fda, v14, -v18
	v_sub_nc_u32_e32 v11, v11, v16
	v_lshrrev_b32_e32 v8, 9, v8
	v_fmamk_f32 v12, v14, 0x33a22168, v12
	v_or_b32_e32 v8, v11, v8
	v_fmac_f32_e32 v12, 0x3fc90fda, v8
	v_add_f32_e32 v8, v18, v12
.LBB15_1595:
	s_andn2_saveexec_b32 s0, s7
; %bb.1596:
	v_mul_f32_e64 v8, 0x3f22f983, |v10|
	v_rndne_f32_e32 v9, v8
	v_fma_f32 v8, 0xbfc90fda, v9, |v10|
	v_fmamk_f32 v8, v9, 0xb3a22168, v8
	v_fmamk_f32 v8, v9, 0xa7c234c4, v8
	v_cvt_i32_f32_e32 v9, v9
; %bb.1597:
	s_or_b32 exec_lo, exec_lo, s0
	v_mul_f32_e32 v11, v8, v8
	s_mov_b32 s0, 0xb94c1982
	s_mov_b32 s1, 0x37d75334
	v_and_b32_e32 v14, 1, v9
	v_lshlrev_b32_e32 v9, 30, v9
	v_fmaak_f32 v12, s0, v11, 0x3c0881c4
	v_fmaak_f32 v13, s1, v11, 0xbab64f3b
	v_xor_b32_e32 v1, v1, v10
	v_cmp_eq_u32_e32 vcc_lo, 0, v14
	v_and_b32_e32 v9, 0x80000000, v9
	v_fmaak_f32 v12, v11, v12, 0xbe2aaa9d
	v_fmaak_f32 v13, v11, v13, 0x3d2aabf7
	v_mul_f32_e32 v12, v11, v12
	v_fmaak_f32 v13, v11, v13, 0xbf000004
	v_fmac_f32_e32 v8, v8, v12
	v_fma_f32 v11, v11, v13, 1.0
	v_cndmask_b32_e32 v8, v11, v8, vcc_lo
	v_cmp_class_f32_e64 vcc_lo, v10, 0x1f8
	v_xor3_b32 v1, v1, v9, v8
	v_cndmask_b32_e32 v1, 0x7fc00000, v1, vcc_lo
	v_div_scale_f32 v8, null, v10, v10, v1
	v_rcp_f32_e32 v9, v8
	v_fma_f32 v11, -v8, v9, 1.0
	v_fmac_f32_e32 v9, v11, v9
	v_div_scale_f32 v11, vcc_lo, v1, v10, v1
	v_mul_f32_e32 v12, v11, v9
	v_fma_f32 v13, -v8, v12, v11
	v_fmac_f32_e32 v12, v13, v9
	v_fma_f32 v8, -v8, v12, v11
	v_div_fmas_f32 v8, v8, v9, v12
	v_div_fixup_f32 v1, v8, v10, v1
                                        ; implicit-def: $vgpr10
.LBB15_1598:
	s_andn2_saveexec_b32 s0, s6
	s_cbranch_execz .LBB15_1600
; %bb.1599:
	v_mul_f32_e32 v1, v10, v10
	s_mov_b32 s1, 0x2f309231
	v_fmaak_f32 v8, s1, v1, 0xb2d7322b
	v_fmaak_f32 v8, v1, v8, 0x3638ef1d
	v_fmaak_f32 v8, v1, v8, 0xb9500d01
	v_fmaak_f32 v8, v1, v8, 0x3c088889
	v_fmaak_f32 v8, v1, v8, 0xbe2aaaab
	v_fma_f32 v1, v1, v8, 1.0
.LBB15_1600:
	s_or_b32 exec_lo, exec_lo, s0
.LBB15_1601:
	s_or_b32 exec_lo, exec_lo, s5
	v_add_co_u32 v7, s0, s10, v7
	v_add_co_ci_u32_e64 v8, null, s11, 0, s0
	s_cmp_lt_i32 s4, 11
	s_cbranch_scc1 .LBB15_1608
; %bb.1602:
	s_and_b32 s0, 0xffff, s4
	s_mov_b32 s5, 0
	s_cmp_gt_i32 s0, 25
	s_cbranch_scc0 .LBB15_1609
; %bb.1603:
	s_cmp_gt_i32 s0, 28
	s_cbranch_scc0 .LBB15_1610
; %bb.1604:
	;; [unrolled: 3-line block ×4, first 2 shown]
	s_cmp_eq_u32 s0, 46
	s_mov_b32 s7, 0
	s_cbranch_scc0 .LBB15_1614
; %bb.1607:
	global_load_dword v9, v[7:8], off
	s_mov_b32 s1, 0
	s_mov_b32 s6, -1
	s_waitcnt vmcnt(0)
	v_lshlrev_b32_e32 v9, 16, v9
	s_branch .LBB15_1616
.LBB15_1608:
	s_mov_b32 s0, -1
	s_mov_b32 s6, 0
                                        ; implicit-def: $vgpr9
	s_branch .LBB15_1682
.LBB15_1609:
	s_mov_b32 s7, -1
	s_mov_b32 s6, 0
	s_mov_b32 s1, 0
                                        ; implicit-def: $vgpr9
	s_branch .LBB15_1645
.LBB15_1610:
	s_mov_b32 s7, -1
	s_mov_b32 s6, 0
	s_mov_b32 s1, 0
                                        ; implicit-def: $vgpr9
	s_branch .LBB15_1626
.LBB15_1611:
	s_mov_b32 s7, -1
	s_mov_b32 s6, 0
	s_mov_b32 s1, 0
                                        ; implicit-def: $vgpr9
	s_branch .LBB15_1621
.LBB15_1612:
	s_or_b32 s2, s2, exec_lo
	s_trap 2
	s_cbranch_execz .LBB15_1541
	s_branch .LBB15_1542
.LBB15_1613:
	s_mov_b32 s7, -1
	s_mov_b32 s6, 0
	s_mov_b32 s1, 0
	s_branch .LBB15_1615
.LBB15_1614:
	s_mov_b32 s1, -1
	s_mov_b32 s6, 0
.LBB15_1615:
                                        ; implicit-def: $vgpr9
.LBB15_1616:
	s_and_b32 vcc_lo, exec_lo, s7
	s_cbranch_vccz .LBB15_1620
; %bb.1617:
	s_cmp_eq_u32 s0, 44
	s_cbranch_scc0 .LBB15_1619
; %bb.1618:
	global_load_ubyte v9, v[7:8], off
	s_mov_b32 s1, 0
	s_mov_b32 s6, -1
	s_waitcnt vmcnt(0)
	v_lshlrev_b32_e32 v10, 23, v9
	v_cmp_ne_u32_e32 vcc_lo, 0xff, v9
	v_cndmask_b32_e32 v10, 0x7f800001, v10, vcc_lo
	v_cmp_ne_u32_e32 vcc_lo, 0, v9
	v_cndmask_b32_e32 v9, 0x400000, v10, vcc_lo
	s_branch .LBB15_1620
.LBB15_1619:
	s_mov_b32 s1, -1
                                        ; implicit-def: $vgpr9
.LBB15_1620:
	s_mov_b32 s7, 0
.LBB15_1621:
	s_and_b32 vcc_lo, exec_lo, s7
	s_cbranch_vccz .LBB15_1625
; %bb.1622:
	s_cmp_eq_u32 s0, 29
	s_cbranch_scc0 .LBB15_1624
; %bb.1623:
	global_load_dwordx2 v[9:10], v[7:8], off
	s_mov_b32 s1, 0
	s_mov_b32 s6, -1
	s_mov_b32 s7, 0
	s_waitcnt vmcnt(0)
	v_ffbh_u32_e32 v11, v10
	v_min_u32_e32 v11, 32, v11
	v_lshlrev_b64 v[9:10], v11, v[9:10]
	v_min_u32_e32 v9, 1, v9
	v_or_b32_e32 v9, v10, v9
	v_sub_nc_u32_e32 v10, 32, v11
	v_cvt_f32_u32_e32 v9, v9
	v_ldexp_f32 v9, v9, v10
	s_branch .LBB15_1626
.LBB15_1624:
	s_mov_b32 s1, -1
                                        ; implicit-def: $vgpr9
.LBB15_1625:
	s_mov_b32 s7, 0
.LBB15_1626:
	s_and_b32 vcc_lo, exec_lo, s7
	s_cbranch_vccz .LBB15_1644
; %bb.1627:
	s_cmp_lt_i32 s0, 27
	s_cbranch_scc1 .LBB15_1630
; %bb.1628:
	s_cmp_gt_i32 s0, 27
	s_cbranch_scc0 .LBB15_1631
; %bb.1629:
	global_load_dword v9, v[7:8], off
	s_mov_b32 s6, 0
	s_waitcnt vmcnt(0)
	v_cvt_f32_u32_e32 v9, v9
	s_branch .LBB15_1632
.LBB15_1630:
	s_mov_b32 s6, -1
                                        ; implicit-def: $vgpr9
	s_branch .LBB15_1635
.LBB15_1631:
	s_mov_b32 s6, -1
                                        ; implicit-def: $vgpr9
.LBB15_1632:
	s_andn2_b32 vcc_lo, exec_lo, s6
	s_cbranch_vccnz .LBB15_1634
; %bb.1633:
	global_load_ushort v9, v[7:8], off
	s_waitcnt vmcnt(0)
	v_cvt_f32_u32_e32 v9, v9
.LBB15_1634:
	s_mov_b32 s6, 0
.LBB15_1635:
	s_andn2_b32 vcc_lo, exec_lo, s6
	s_cbranch_vccnz .LBB15_1643
; %bb.1636:
	global_load_ubyte v10, v[7:8], off
	s_mov_b32 s6, 0
	s_mov_b32 s7, exec_lo
	s_waitcnt vmcnt(0)
	v_cmpx_lt_i16_e32 0x7f, v10
	s_xor_b32 s7, exec_lo, s7
	s_cbranch_execz .LBB15_1657
; %bb.1637:
	s_mov_b32 s6, -1
	s_mov_b32 s10, exec_lo
	v_cmpx_eq_u16_e32 0x80, v10
; %bb.1638:
	s_xor_b32 s6, exec_lo, -1
; %bb.1639:
	s_or_b32 exec_lo, exec_lo, s10
	s_and_b32 s6, s6, exec_lo
	s_or_saveexec_b32 s7, s7
	v_mov_b32_e32 v9, 0x7f800001
	s_xor_b32 exec_lo, exec_lo, s7
	s_cbranch_execnz .LBB15_1658
.LBB15_1640:
	s_or_b32 exec_lo, exec_lo, s7
	s_and_saveexec_b32 s7, s6
	s_cbranch_execz .LBB15_1642
.LBB15_1641:
	v_and_b32_e32 v9, 0xffff, v10
	v_lshlrev_b32_e32 v10, 24, v10
	v_and_b32_e32 v11, 7, v9
	v_bfe_u32 v14, v9, 3, 4
	v_and_b32_e32 v10, 0x80000000, v10
	v_ffbh_u32_e32 v12, v11
	v_cmp_eq_u32_e32 vcc_lo, 0, v14
	v_min_u32_e32 v12, 32, v12
	v_subrev_nc_u32_e32 v13, 28, v12
	v_sub_nc_u32_e32 v12, 29, v12
	v_lshlrev_b32_e32 v9, v13, v9
	v_cndmask_b32_e32 v12, v14, v12, vcc_lo
	v_and_b32_e32 v9, 7, v9
	v_cndmask_b32_e32 v9, v11, v9, vcc_lo
	v_lshl_add_u32 v11, v12, 23, 0x3b800000
	v_lshlrev_b32_e32 v9, 20, v9
	v_or3_b32 v9, v10, v11, v9
.LBB15_1642:
	s_or_b32 exec_lo, exec_lo, s7
.LBB15_1643:
	s_mov_b32 s6, -1
.LBB15_1644:
	s_mov_b32 s7, 0
.LBB15_1645:
	s_and_b32 vcc_lo, exec_lo, s7
	s_cbranch_vccz .LBB15_1678
; %bb.1646:
	s_cmp_gt_i32 s0, 22
	s_cbranch_scc0 .LBB15_1656
; %bb.1647:
	s_cmp_lt_i32 s0, 24
	s_cbranch_scc1 .LBB15_1659
; %bb.1648:
	s_cmp_gt_i32 s0, 24
	s_cbranch_scc0 .LBB15_1660
; %bb.1649:
	global_load_ubyte v10, v[7:8], off
	s_mov_b32 s6, exec_lo
	s_waitcnt vmcnt(0)
	v_cmpx_lt_i16_e32 0x7f, v10
	s_xor_b32 s6, exec_lo, s6
	s_cbranch_execz .LBB15_1672
; %bb.1650:
	s_mov_b32 s5, -1
	s_mov_b32 s7, exec_lo
	v_cmpx_eq_u16_e32 0x80, v10
; %bb.1651:
	s_xor_b32 s5, exec_lo, -1
; %bb.1652:
	s_or_b32 exec_lo, exec_lo, s7
	s_and_b32 s5, s5, exec_lo
	s_or_saveexec_b32 s6, s6
	v_mov_b32_e32 v9, 0x7f800001
	s_xor_b32 exec_lo, exec_lo, s6
	s_cbranch_execnz .LBB15_1673
.LBB15_1653:
	s_or_b32 exec_lo, exec_lo, s6
	s_and_saveexec_b32 s6, s5
	s_cbranch_execz .LBB15_1655
.LBB15_1654:
	v_and_b32_e32 v9, 0xffff, v10
	v_lshlrev_b32_e32 v10, 24, v10
	v_and_b32_e32 v11, 3, v9
	v_bfe_u32 v14, v9, 2, 5
	v_and_b32_e32 v10, 0x80000000, v10
	v_ffbh_u32_e32 v12, v11
	v_cmp_eq_u32_e32 vcc_lo, 0, v14
	v_min_u32_e32 v12, 32, v12
	v_subrev_nc_u32_e32 v13, 29, v12
	v_sub_nc_u32_e32 v12, 30, v12
	v_lshlrev_b32_e32 v9, v13, v9
	v_cndmask_b32_e32 v12, v14, v12, vcc_lo
	v_and_b32_e32 v9, 3, v9
	v_cndmask_b32_e32 v9, v11, v9, vcc_lo
	v_lshl_add_u32 v11, v12, 23, 0x37800000
	v_lshlrev_b32_e32 v9, 21, v9
	v_or3_b32 v9, v10, v11, v9
.LBB15_1655:
	s_or_b32 exec_lo, exec_lo, s6
	s_mov_b32 s5, 0
	s_branch .LBB15_1661
.LBB15_1656:
	s_mov_b32 s5, -1
                                        ; implicit-def: $vgpr9
	s_branch .LBB15_1667
.LBB15_1657:
	s_or_saveexec_b32 s7, s7
	v_mov_b32_e32 v9, 0x7f800001
	s_xor_b32 exec_lo, exec_lo, s7
	s_cbranch_execz .LBB15_1640
.LBB15_1658:
	v_cmp_ne_u16_e32 vcc_lo, 0, v10
	v_mov_b32_e32 v9, 0
	s_andn2_b32 s6, s6, exec_lo
	s_and_b32 s10, vcc_lo, exec_lo
	s_or_b32 s6, s6, s10
	s_or_b32 exec_lo, exec_lo, s7
	s_and_saveexec_b32 s7, s6
	s_cbranch_execnz .LBB15_1641
	s_branch .LBB15_1642
.LBB15_1659:
	s_mov_b32 s5, -1
                                        ; implicit-def: $vgpr9
	s_branch .LBB15_1664
.LBB15_1660:
	s_mov_b32 s5, -1
                                        ; implicit-def: $vgpr9
.LBB15_1661:
	s_and_b32 vcc_lo, exec_lo, s5
	s_cbranch_vccz .LBB15_1663
; %bb.1662:
	global_load_ubyte v9, v[7:8], off
	s_waitcnt vmcnt(0)
	v_lshlrev_b32_e32 v9, 24, v9
	v_and_b32_e32 v10, 0x7f000000, v9
	v_ffbh_u32_e32 v11, v10
	v_add_nc_u32_e32 v13, 0x1000000, v10
	v_cmp_ne_u32_e32 vcc_lo, 0, v10
	v_min_u32_e32 v11, 32, v11
	v_sub_nc_u32_e64 v11, v11, 4 clamp
	v_lshlrev_b32_e32 v12, v11, v10
	v_lshlrev_b32_e32 v11, 23, v11
	v_lshrrev_b32_e32 v12, 4, v12
	v_sub_nc_u32_e32 v11, v12, v11
	v_ashrrev_i32_e32 v12, 8, v13
	v_add_nc_u32_e32 v11, 0x3c000000, v11
	v_and_or_b32 v11, 0x7f800000, v12, v11
	v_cndmask_b32_e32 v10, 0, v11, vcc_lo
	v_and_or_b32 v9, 0x80000000, v9, v10
.LBB15_1663:
	s_mov_b32 s5, 0
.LBB15_1664:
	s_andn2_b32 vcc_lo, exec_lo, s5
	s_cbranch_vccnz .LBB15_1666
; %bb.1665:
	global_load_ubyte v9, v[7:8], off
	s_waitcnt vmcnt(0)
	v_lshlrev_b32_e32 v10, 25, v9
	v_lshlrev_b16 v9, 8, v9
	v_lshrrev_b32_e32 v11, 4, v10
	v_and_or_b32 v12, 0x7f00, v9, 0.5
	v_cmp_gt_u32_e32 vcc_lo, 0x8000000, v10
	v_bfe_i32 v9, v9, 0, 16
	v_or_b32_e32 v11, 0x70000000, v11
	v_add_f32_e32 v12, -0.5, v12
	v_mul_f32_e32 v11, 0x7800000, v11
	v_cndmask_b32_e32 v10, v11, v12, vcc_lo
	v_and_or_b32 v9, 0x80000000, v9, v10
.LBB15_1666:
	s_mov_b32 s5, 0
	s_mov_b32 s6, -1
.LBB15_1667:
	s_andn2_b32 vcc_lo, exec_lo, s5
	s_mov_b32 s5, 0
	s_cbranch_vccnz .LBB15_1678
; %bb.1668:
	s_cmp_gt_i32 s0, 14
	s_cbranch_scc0 .LBB15_1671
; %bb.1669:
	s_cmp_eq_u32 s0, 15
	s_cbranch_scc0 .LBB15_1674
; %bb.1670:
	global_load_ushort v9, v[7:8], off
	s_mov_b32 s1, 0
	s_mov_b32 s6, -1
	s_waitcnt vmcnt(0)
	v_lshlrev_b32_e32 v9, 16, v9
	s_branch .LBB15_1676
.LBB15_1671:
	s_mov_b32 s5, -1
	s_branch .LBB15_1675
.LBB15_1672:
	s_or_saveexec_b32 s6, s6
	v_mov_b32_e32 v9, 0x7f800001
	s_xor_b32 exec_lo, exec_lo, s6
	s_cbranch_execz .LBB15_1653
.LBB15_1673:
	v_cmp_ne_u16_e32 vcc_lo, 0, v10
	v_mov_b32_e32 v9, 0
	s_andn2_b32 s5, s5, exec_lo
	s_and_b32 s7, vcc_lo, exec_lo
	s_or_b32 s5, s5, s7
	s_or_b32 exec_lo, exec_lo, s6
	s_and_saveexec_b32 s6, s5
	s_cbranch_execnz .LBB15_1654
	s_branch .LBB15_1655
.LBB15_1674:
	s_mov_b32 s1, -1
.LBB15_1675:
                                        ; implicit-def: $vgpr9
.LBB15_1676:
	s_and_b32 vcc_lo, exec_lo, s5
	s_mov_b32 s5, 0
	s_cbranch_vccz .LBB15_1678
; %bb.1677:
	s_cmp_lg_u32 s0, 11
	s_mov_b32 s5, -1
	s_cselect_b32 s1, -1, 0
.LBB15_1678:
	s_and_b32 vcc_lo, exec_lo, s1
	s_cbranch_vccnz .LBB15_2222
; %bb.1679:
	s_andn2_b32 vcc_lo, exec_lo, s5
	s_cbranch_vccnz .LBB15_1681
.LBB15_1680:
	global_load_ubyte v9, v[7:8], off
	s_mov_b32 s6, -1
	s_waitcnt vmcnt(0)
	v_cmp_ne_u16_e32 vcc_lo, 0, v9
	v_cndmask_b32_e64 v9, 0, 1.0, vcc_lo
.LBB15_1681:
	s_mov_b32 s0, 0
.LBB15_1682:
	s_and_b32 vcc_lo, exec_lo, s0
	s_cbranch_vccz .LBB15_1731
; %bb.1683:
	s_and_b32 s0, 0xffff, s4
	s_cmp_lt_i32 s0, 5
	s_cbranch_scc1 .LBB15_1688
; %bb.1684:
	s_cmp_lt_i32 s0, 8
	s_cbranch_scc1 .LBB15_1689
; %bb.1685:
	;; [unrolled: 3-line block ×3, first 2 shown]
	s_cmp_gt_i32 s0, 9
	s_cbranch_scc0 .LBB15_1691
; %bb.1687:
	global_load_dwordx2 v[9:10], v[7:8], off
	s_mov_b32 s1, 0
	s_waitcnt vmcnt(0)
	v_cvt_f32_f64_e32 v9, v[9:10]
	s_branch .LBB15_1692
.LBB15_1688:
	s_mov_b32 s1, -1
                                        ; implicit-def: $vgpr9
	s_branch .LBB15_1710
.LBB15_1689:
	s_mov_b32 s1, -1
                                        ; implicit-def: $vgpr9
	s_branch .LBB15_1698
.LBB15_1690:
	s_mov_b32 s1, -1
                                        ; implicit-def: $vgpr9
	s_branch .LBB15_1695
.LBB15_1691:
	s_mov_b32 s1, -1
                                        ; implicit-def: $vgpr9
.LBB15_1692:
	s_andn2_b32 vcc_lo, exec_lo, s1
	s_cbranch_vccnz .LBB15_1694
; %bb.1693:
	global_load_dword v9, v[7:8], off
.LBB15_1694:
	s_mov_b32 s1, 0
.LBB15_1695:
	s_andn2_b32 vcc_lo, exec_lo, s1
	s_cbranch_vccnz .LBB15_1697
; %bb.1696:
	global_load_dword v9, v[7:8], off
	s_waitcnt vmcnt(0)
	v_cvt_f32_f16_e32 v9, v9
.LBB15_1697:
	s_mov_b32 s1, 0
.LBB15_1698:
	s_andn2_b32 vcc_lo, exec_lo, s1
	s_cbranch_vccnz .LBB15_1709
; %bb.1699:
	s_cmp_lt_i32 s0, 6
	s_cbranch_scc1 .LBB15_1702
; %bb.1700:
	s_cmp_gt_i32 s0, 6
	s_cbranch_scc0 .LBB15_1703
; %bb.1701:
	global_load_dwordx2 v[9:10], v[7:8], off
	s_mov_b32 s1, 0
	s_waitcnt vmcnt(0)
	v_cvt_f32_f64_e32 v9, v[9:10]
	s_branch .LBB15_1704
.LBB15_1702:
	s_mov_b32 s1, -1
                                        ; implicit-def: $vgpr9
	s_branch .LBB15_1707
.LBB15_1703:
	s_mov_b32 s1, -1
                                        ; implicit-def: $vgpr9
.LBB15_1704:
	s_andn2_b32 vcc_lo, exec_lo, s1
	s_cbranch_vccnz .LBB15_1706
; %bb.1705:
	global_load_dword v9, v[7:8], off
.LBB15_1706:
	s_mov_b32 s1, 0
.LBB15_1707:
	s_andn2_b32 vcc_lo, exec_lo, s1
	s_cbranch_vccnz .LBB15_1709
; %bb.1708:
	global_load_ushort v9, v[7:8], off
	s_waitcnt vmcnt(0)
	v_cvt_f32_f16_e32 v9, v9
.LBB15_1709:
	s_mov_b32 s1, 0
.LBB15_1710:
	s_andn2_b32 vcc_lo, exec_lo, s1
	s_cbranch_vccnz .LBB15_1730
; %bb.1711:
	s_cmp_lt_i32 s0, 2
	s_cbranch_scc1 .LBB15_1715
; %bb.1712:
	s_cmp_lt_i32 s0, 3
	s_cbranch_scc1 .LBB15_1716
; %bb.1713:
	s_cmp_gt_i32 s0, 3
	s_cbranch_scc0 .LBB15_1717
; %bb.1714:
	global_load_dwordx2 v[9:10], v[7:8], off
	s_mov_b32 s1, 0
	s_waitcnt vmcnt(0)
	v_xor_b32_e32 v11, v9, v10
	v_ffbh_i32_e32 v12, v10
	v_ashrrev_i32_e32 v11, 31, v11
	v_add_nc_u32_e32 v12, -1, v12
	v_add_nc_u32_e32 v11, 32, v11
	v_min_u32_e32 v11, v12, v11
	v_lshlrev_b64 v[9:10], v11, v[9:10]
	v_min_u32_e32 v9, 1, v9
	v_or_b32_e32 v9, v10, v9
	v_sub_nc_u32_e32 v10, 32, v11
	v_cvt_f32_i32_e32 v9, v9
	v_ldexp_f32 v9, v9, v10
	s_branch .LBB15_1718
.LBB15_1715:
	s_mov_b32 s1, -1
                                        ; implicit-def: $vgpr9
	s_branch .LBB15_1724
.LBB15_1716:
	s_mov_b32 s1, -1
                                        ; implicit-def: $vgpr9
	s_branch .LBB15_1721
.LBB15_1717:
	s_mov_b32 s1, -1
                                        ; implicit-def: $vgpr9
.LBB15_1718:
	s_andn2_b32 vcc_lo, exec_lo, s1
	s_cbranch_vccnz .LBB15_1720
; %bb.1719:
	global_load_dword v9, v[7:8], off
	s_waitcnt vmcnt(0)
	v_cvt_f32_i32_e32 v9, v9
.LBB15_1720:
	s_mov_b32 s1, 0
.LBB15_1721:
	s_andn2_b32 vcc_lo, exec_lo, s1
	s_cbranch_vccnz .LBB15_1723
; %bb.1722:
	global_load_sshort v9, v[7:8], off
	s_waitcnt vmcnt(0)
	v_cvt_f32_i32_e32 v9, v9
.LBB15_1723:
	s_mov_b32 s1, 0
.LBB15_1724:
	s_andn2_b32 vcc_lo, exec_lo, s1
	s_cbranch_vccnz .LBB15_1730
; %bb.1725:
	s_cmp_gt_i32 s0, 0
	s_mov_b32 s0, 0
	s_cbranch_scc0 .LBB15_1727
; %bb.1726:
	global_load_sbyte v9, v[7:8], off
	s_waitcnt vmcnt(0)
	v_cvt_f32_i32_e32 v9, v9
	s_branch .LBB15_1728
.LBB15_1727:
	s_mov_b32 s0, -1
                                        ; implicit-def: $vgpr9
.LBB15_1728:
	s_andn2_b32 vcc_lo, exec_lo, s0
	s_cbranch_vccnz .LBB15_1730
; %bb.1729:
	global_load_ubyte v7, v[7:8], off
	s_waitcnt vmcnt(0)
	v_cvt_f32_ubyte0_e32 v9, v7
.LBB15_1730:
	s_mov_b32 s6, -1
.LBB15_1731:
	s_andn2_b32 vcc_lo, exec_lo, s6
	s_cbranch_vccnz .LBB15_1820
; %bb.1732:
	v_mov_b32_e32 v7, 0
	s_mov_b32 s4, exec_lo
	s_waitcnt vmcnt(0)
	v_cmpx_neq_f32_e64 0x7f800000, |v9|
	s_cbranch_execz .LBB15_1742
; %bb.1733:
                                        ; implicit-def: $vgpr7
	s_mov_b32 s1, exec_lo
	v_cmpx_nlt_f32_e64 |v9|, 0.5
	s_xor_b32 s5, exec_lo, s1
	s_cbranch_execz .LBB15_1739
; %bb.1734:
	v_and_b32_e32 v7, 0x7fffffff, v9
                                        ; implicit-def: $vgpr10
                                        ; implicit-def: $vgpr8
	s_mov_b32 s1, exec_lo
	v_cmpx_ngt_f32_e64 0x48000000, |v9|
	s_xor_b32 s6, exec_lo, s1
	s_cbranch_execz .LBB15_1736
; %bb.1735:
	s_mov_b32 s0, 0x7fffff
	v_mov_b32_e32 v12, 0
	v_and_or_b32 v8, v7, s0, 0x800000
	v_lshrrev_b32_e32 v17, 23, v7
	v_mad_u64_u32 v[10:11], null, 0xfe5163ab, v8, 0
	v_add_nc_u32_e32 v18, 0xffffff88, v17
	v_cmp_lt_u32_e32 vcc_lo, 63, v18
	v_mad_u64_u32 v[13:14], null, 0x3c439041, v8, v[11:12]
	v_cndmask_b32_e64 v19, 0, 0xffffffc0, vcc_lo
	v_mov_b32_e32 v11, v14
	v_add_nc_u32_e32 v19, v19, v18
	v_mad_u64_u32 v[14:15], null, 0xdb629599, v8, v[11:12]
	v_cmp_lt_u32_e64 s0, 31, v19
	v_cndmask_b32_e64 v20, 0, 0xffffffe0, s0
	v_mov_b32_e32 v11, v15
	v_cndmask_b32_e32 v10, v14, v10, vcc_lo
	v_mad_u64_u32 v[15:16], null, 0xf534ddc0, v8, v[11:12]
	v_mov_b32_e32 v11, v16
	v_cndmask_b32_e32 v13, v15, v13, vcc_lo
	v_mad_u64_u32 v[16:17], null, 0xfc2757d1, v8, v[11:12]
	v_cndmask_b32_e64 v10, v13, v10, s0
	v_mov_b32_e32 v11, v17
	v_mad_u64_u32 v[17:18], null, 0x4e441529, v8, v[11:12]
	v_mov_b32_e32 v11, v18
	v_add_nc_u32_e32 v18, v20, v19
	v_cndmask_b32_e32 v19, v17, v15, vcc_lo
	v_mad_u64_u32 v[11:12], null, 0xa2f9836e, v8, v[11:12]
	v_cmp_lt_u32_e64 s1, 31, v18
	v_cndmask_b32_e64 v8, 0, 0xffffffe0, s1
	v_cndmask_b32_e32 v11, v11, v16, vcc_lo
	v_cndmask_b32_e32 v12, v12, v17, vcc_lo
	;; [unrolled: 1-line block ×3, first 2 shown]
	v_add_nc_u32_e32 v8, v8, v18
	v_cndmask_b32_e64 v15, v11, v19, s0
	v_cndmask_b32_e64 v11, v12, v11, s0
	;; [unrolled: 1-line block ×4, first 2 shown]
	v_sub_nc_u32_e32 v17, 32, v8
	v_cmp_eq_u32_e32 vcc_lo, 0, v8
	v_cndmask_b32_e64 v11, v11, v15, s1
	v_cndmask_b32_e64 v15, v15, v12, s1
	;; [unrolled: 1-line block ×4, first 2 shown]
	v_alignbit_b32 v18, v11, v15, v17
	v_alignbit_b32 v14, v15, v12, v17
	;; [unrolled: 1-line block ×3, first 2 shown]
	v_cndmask_b32_e32 v8, v18, v11, vcc_lo
	v_cndmask_b32_e32 v11, v14, v15, vcc_lo
	;; [unrolled: 1-line block ×3, first 2 shown]
	v_bfe_u32 v13, v8, 29, 1
	v_alignbit_b32 v14, v8, v11, 30
	v_alignbit_b32 v11, v11, v12, 30
	;; [unrolled: 1-line block ×3, first 2 shown]
	v_sub_nc_u32_e32 v15, 0, v13
	v_xor_b32_e32 v14, v14, v15
	v_xor_b32_e32 v11, v11, v15
	;; [unrolled: 1-line block ×3, first 2 shown]
	v_lshrrev_b32_e32 v15, 29, v8
	v_ffbh_u32_e32 v16, v14
	v_min_u32_e32 v16, 32, v16
	v_sub_nc_u32_e32 v12, 31, v16
	v_lshlrev_b32_e32 v17, 23, v16
	v_alignbit_b32 v14, v14, v11, v12
	v_alignbit_b32 v10, v11, v10, v12
	v_lshlrev_b32_e32 v11, 31, v15
	v_alignbit_b32 v12, v14, v10, 9
	v_or_b32_e32 v15, 0.5, v11
	v_lshrrev_b32_e32 v14, 9, v14
	v_or_b32_e32 v11, 0x33000000, v11
	v_ffbh_u32_e32 v18, v12
	v_sub_nc_u32_e32 v15, v15, v17
	v_min_u32_e32 v17, 32, v18
	v_or_b32_e32 v14, v14, v15
	v_not_b32_e32 v15, v17
	v_mul_f32_e32 v18, 0x3fc90fda, v14
	v_add_lshl_u32 v16, v17, v16, 23
	v_alignbit_b32 v10, v12, v10, v15
	v_fma_f32 v12, 0x3fc90fda, v14, -v18
	v_sub_nc_u32_e32 v11, v11, v16
	v_lshrrev_b32_e32 v10, 9, v10
	v_fmamk_f32 v12, v14, 0x33a22168, v12
	v_or_b32_e32 v10, v11, v10
	v_fmac_f32_e32 v12, 0x3fc90fda, v10
	v_lshrrev_b32_e32 v10, 30, v8
	v_add_f32_e32 v8, v18, v12
	v_add_nc_u32_e32 v10, v13, v10
.LBB15_1736:
	s_andn2_saveexec_b32 s0, s6
; %bb.1737:
	v_mul_f32_e64 v8, 0x3f22f983, |v9|
	v_rndne_f32_e32 v10, v8
	v_fma_f32 v8, 0xbfc90fda, v10, |v9|
	v_fmamk_f32 v8, v10, 0xb3a22168, v8
	v_fmamk_f32 v8, v10, 0xa7c234c4, v8
	v_cvt_i32_f32_e32 v10, v10
; %bb.1738:
	s_or_b32 exec_lo, exec_lo, s0
	v_mul_f32_e32 v11, v8, v8
	s_mov_b32 s0, 0xb94c1982
	s_mov_b32 s1, 0x37d75334
	v_and_b32_e32 v14, 1, v10
	v_lshlrev_b32_e32 v10, 30, v10
	v_fmaak_f32 v12, s0, v11, 0x3c0881c4
	v_fmaak_f32 v13, s1, v11, 0xbab64f3b
	v_xor_b32_e32 v7, v7, v9
	v_cmp_eq_u32_e32 vcc_lo, 0, v14
	v_and_b32_e32 v10, 0x80000000, v10
	v_fmaak_f32 v12, v11, v12, 0xbe2aaa9d
	v_fmaak_f32 v13, v11, v13, 0x3d2aabf7
	v_mul_f32_e32 v12, v11, v12
	v_fmaak_f32 v13, v11, v13, 0xbf000004
	v_fmac_f32_e32 v8, v8, v12
	v_fma_f32 v11, v11, v13, 1.0
	v_cndmask_b32_e32 v8, v11, v8, vcc_lo
	v_cmp_class_f32_e64 vcc_lo, v9, 0x1f8
	v_xor3_b32 v7, v7, v10, v8
	v_cndmask_b32_e32 v7, 0x7fc00000, v7, vcc_lo
	v_div_scale_f32 v8, null, v9, v9, v7
	v_rcp_f32_e32 v10, v8
	v_fma_f32 v11, -v8, v10, 1.0
	v_fmac_f32_e32 v10, v11, v10
	v_div_scale_f32 v11, vcc_lo, v7, v9, v7
	v_mul_f32_e32 v12, v11, v10
	v_fma_f32 v13, -v8, v12, v11
	v_fmac_f32_e32 v12, v13, v10
	v_fma_f32 v8, -v8, v12, v11
	v_div_fmas_f32 v8, v8, v10, v12
	v_div_fixup_f32 v7, v8, v9, v7
                                        ; implicit-def: $vgpr9
.LBB15_1739:
	s_andn2_saveexec_b32 s0, s5
	s_cbranch_execz .LBB15_1741
; %bb.1740:
	v_mul_f32_e32 v7, v9, v9
	s_mov_b32 s1, 0x2f309231
	v_fmaak_f32 v8, s1, v7, 0xb2d7322b
	v_fmaak_f32 v8, v7, v8, 0x3638ef1d
	;; [unrolled: 1-line block ×5, first 2 shown]
	v_fma_f32 v7, v7, v8, 1.0
.LBB15_1741:
	s_or_b32 exec_lo, exec_lo, s0
.LBB15_1742:
	s_or_b32 exec_lo, exec_lo, s4
	v_add_co_u32 v8, s0, s8, v6
	v_add_co_ci_u32_e64 v9, null, s9, 0, s0
	s_bfe_u32 s1, s3, 0x80008
	s_cmp_lt_i32 s1, 11
	s_cbranch_scc1 .LBB15_1865
; %bb.1743:
	s_and_b32 s4, 0xffff, s1
	s_mov_b32 s7, -1
	s_mov_b32 s5, 0
	s_cmp_gt_i32 s4, 25
	s_mov_b32 s6, 0
	s_mov_b32 s0, 0
	s_cbranch_scc0 .LBB15_1776
; %bb.1744:
	s_cmp_gt_i32 s4, 28
	s_cbranch_scc0 .LBB15_1759
; %bb.1745:
	s_cmp_gt_i32 s4, 43
	;; [unrolled: 3-line block ×3, first 2 shown]
	s_cbranch_scc0 .LBB15_1749
; %bb.1747:
	s_mov_b32 s0, -1
	s_mov_b32 s7, 0
	s_cmp_eq_u32 s4, 46
	s_cbranch_scc0 .LBB15_1749
; %bb.1748:
	v_bfe_u32 v6, v5, 16, 1
	v_cmp_o_f32_e32 vcc_lo, v5, v5
	v_mov_b32_e32 v10, 0x7fc0
	s_mov_b32 s0, 0
	s_mov_b32 s6, -1
	v_add3_u32 v6, v5, v6, 0x7fff
	v_cndmask_b32_sdwa v6, v10, v6, vcc_lo dst_sel:DWORD dst_unused:UNUSED_PAD src0_sel:DWORD src1_sel:WORD_1
	global_store_dword v[8:9], v6, off
.LBB15_1749:
	s_and_b32 vcc_lo, exec_lo, s7
	s_cbranch_vccz .LBB15_1754
; %bb.1750:
	s_cmp_eq_u32 s4, 44
	s_mov_b32 s0, -1
	s_cbranch_scc0 .LBB15_1754
; %bb.1751:
	v_bfe_u32 v10, v5, 23, 8
	v_mov_b32_e32 v6, 0xff
	s_mov_b32 s6, exec_lo
	v_cmpx_ne_u32_e32 0xff, v10
	s_cbranch_execz .LBB15_1753
; %bb.1752:
	v_and_b32_e32 v6, 0x400000, v5
	v_and_or_b32 v10, 0x3fffff, v5, v10
	v_cmp_ne_u32_e32 vcc_lo, 0, v6
	v_cmp_ne_u32_e64 s0, 0, v10
	v_lshrrev_b32_e32 v6, 23, v5
	s_and_b32 s0, vcc_lo, s0
	v_cndmask_b32_e64 v10, 0, 1, s0
	v_add_nc_u32_e32 v6, v6, v10
.LBB15_1753:
	s_or_b32 exec_lo, exec_lo, s6
	s_mov_b32 s0, 0
	s_mov_b32 s6, -1
	global_store_byte v[8:9], v6, off
.LBB15_1754:
	s_mov_b32 s7, 0
.LBB15_1755:
	s_and_b32 vcc_lo, exec_lo, s7
	s_cbranch_vccz .LBB15_1758
; %bb.1756:
	s_cmp_eq_u32 s4, 29
	s_mov_b32 s0, -1
	s_cbranch_scc0 .LBB15_1758
; %bb.1757:
	v_trunc_f32_e32 v6, v5
	s_mov_b32 s0, 0
	s_mov_b32 s6, -1
	v_mul_f32_e32 v10, 0x2f800000, v6
	v_floor_f32_e32 v10, v10
	v_fmamk_f32 v6, v10, 0xcf800000, v6
	v_cvt_u32_f32_e32 v11, v10
	v_cvt_u32_f32_e32 v10, v6
	global_store_dwordx2 v[8:9], v[10:11], off
.LBB15_1758:
	s_mov_b32 s7, 0
.LBB15_1759:
	s_and_b32 vcc_lo, exec_lo, s7
	s_cbranch_vccz .LBB15_1775
; %bb.1760:
	s_cmp_lt_i32 s4, 27
	s_mov_b32 s6, -1
	s_cbranch_scc1 .LBB15_1766
; %bb.1761:
	v_cvt_u32_f32_e32 v6, v5
	s_cmp_gt_i32 s4, 27
	s_cbranch_scc0 .LBB15_1763
; %bb.1762:
	s_mov_b32 s6, 0
	global_store_dword v[8:9], v6, off
.LBB15_1763:
	s_andn2_b32 vcc_lo, exec_lo, s6
	s_cbranch_vccnz .LBB15_1765
; %bb.1764:
	global_store_short v[8:9], v6, off
.LBB15_1765:
	s_mov_b32 s6, 0
.LBB15_1766:
	s_andn2_b32 vcc_lo, exec_lo, s6
	s_cbranch_vccnz .LBB15_1774
; %bb.1767:
	v_and_b32_e32 v6, 0x7fffffff, v5
	v_mov_b32_e32 v10, 0x80
	s_mov_b32 s6, exec_lo
	v_cmpx_gt_u32_e32 0x43800000, v6
	s_cbranch_execz .LBB15_1773
; %bb.1768:
	v_cmp_lt_u32_e32 vcc_lo, 0x3bffffff, v6
	s_mov_b32 s7, 0
                                        ; implicit-def: $vgpr6
	s_and_saveexec_b32 s10, vcc_lo
	s_xor_b32 s10, exec_lo, s10
	s_cbranch_execz .LBB15_2223
; %bb.1769:
	v_bfe_u32 v6, v5, 20, 1
	s_mov_b32 s7, exec_lo
	v_add3_u32 v6, v5, v6, 0x487ffff
	v_lshrrev_b32_e32 v6, 20, v6
	s_andn2_saveexec_b32 s10, s10
	s_cbranch_execnz .LBB15_2224
.LBB15_1770:
	s_or_b32 exec_lo, exec_lo, s10
	v_mov_b32_e32 v10, 0
	s_and_saveexec_b32 s10, s7
.LBB15_1771:
	v_lshrrev_b32_e32 v10, 24, v5
	v_and_or_b32 v10, 0x80, v10, v6
.LBB15_1772:
	s_or_b32 exec_lo, exec_lo, s10
.LBB15_1773:
	s_or_b32 exec_lo, exec_lo, s6
	global_store_byte v[8:9], v10, off
.LBB15_1774:
	s_mov_b32 s6, -1
.LBB15_1775:
	s_mov_b32 s7, 0
.LBB15_1776:
	s_and_b32 vcc_lo, exec_lo, s7
	s_cbranch_vccz .LBB15_1816
; %bb.1777:
	s_cmp_gt_i32 s4, 22
	s_mov_b32 s5, -1
	s_cbranch_scc0 .LBB15_1809
; %bb.1778:
	s_cmp_lt_i32 s4, 24
	s_cbranch_scc1 .LBB15_1798
; %bb.1779:
	s_cmp_gt_i32 s4, 24
	s_cbranch_scc0 .LBB15_1787
; %bb.1780:
	v_and_b32_e32 v6, 0x7fffffff, v5
	v_mov_b32_e32 v10, 0x80
	s_mov_b32 s5, exec_lo
	v_cmpx_gt_u32_e32 0x47800000, v6
	s_cbranch_execz .LBB15_1786
; %bb.1781:
	v_cmp_lt_u32_e32 vcc_lo, 0x37ffffff, v6
	s_mov_b32 s6, 0
                                        ; implicit-def: $vgpr6
	s_and_saveexec_b32 s7, vcc_lo
	s_xor_b32 s7, exec_lo, s7
	s_cbranch_execz .LBB15_2226
; %bb.1782:
	v_bfe_u32 v6, v5, 21, 1
	s_mov_b32 s6, exec_lo
	v_add3_u32 v6, v5, v6, 0x88fffff
	v_lshrrev_b32_e32 v6, 21, v6
	s_andn2_saveexec_b32 s7, s7
	s_cbranch_execnz .LBB15_2227
.LBB15_1783:
	s_or_b32 exec_lo, exec_lo, s7
	v_mov_b32_e32 v10, 0
	s_and_saveexec_b32 s7, s6
.LBB15_1784:
	v_lshrrev_b32_e32 v10, 24, v5
	v_and_or_b32 v10, 0x80, v10, v6
.LBB15_1785:
	s_or_b32 exec_lo, exec_lo, s7
.LBB15_1786:
	s_or_b32 exec_lo, exec_lo, s5
	s_mov_b32 s5, 0
	global_store_byte v[8:9], v10, off
.LBB15_1787:
	s_and_b32 vcc_lo, exec_lo, s5
	s_cbranch_vccz .LBB15_1797
; %bb.1788:
	v_and_b32_e32 v10, 0x7fffffff, v5
	s_mov_b32 s5, exec_lo
                                        ; implicit-def: $vgpr6
	v_cmpx_gt_u32_e32 0x43f00000, v10
	s_xor_b32 s5, exec_lo, s5
	s_cbranch_execz .LBB15_1794
; %bb.1789:
	s_mov_b32 s6, exec_lo
                                        ; implicit-def: $vgpr6
	v_cmpx_lt_u32_e32 0x3c7fffff, v10
	s_xor_b32 s6, exec_lo, s6
; %bb.1790:
	v_bfe_u32 v6, v5, 20, 1
	v_add3_u32 v6, v5, v6, 0x407ffff
	v_and_b32_e32 v10, 0xff00000, v6
	v_lshrrev_b32_e32 v6, 20, v6
	v_cmp_ne_u32_e32 vcc_lo, 0x7f00000, v10
	v_cndmask_b32_e32 v6, 0x7e, v6, vcc_lo
; %bb.1791:
	s_andn2_saveexec_b32 s6, s6
; %bb.1792:
	v_add_f32_e64 v6, 0x46800000, |v5|
; %bb.1793:
	s_or_b32 exec_lo, exec_lo, s6
                                        ; implicit-def: $vgpr10
.LBB15_1794:
	s_andn2_saveexec_b32 s5, s5
; %bb.1795:
	v_mov_b32_e32 v6, 0x7f
	v_cmp_lt_u32_e32 vcc_lo, 0x7f800000, v10
	v_cndmask_b32_e32 v6, 0x7e, v6, vcc_lo
; %bb.1796:
	s_or_b32 exec_lo, exec_lo, s5
	v_lshrrev_b32_e32 v10, 24, v5
	v_and_or_b32 v6, 0x80, v10, v6
	global_store_byte v[8:9], v6, off
.LBB15_1797:
	s_mov_b32 s5, 0
.LBB15_1798:
	s_andn2_b32 vcc_lo, exec_lo, s5
	s_cbranch_vccnz .LBB15_1808
; %bb.1799:
	v_and_b32_e32 v10, 0x7fffffff, v5
	s_mov_b32 s5, exec_lo
                                        ; implicit-def: $vgpr6
	v_cmpx_gt_u32_e32 0x47800000, v10
	s_xor_b32 s5, exec_lo, s5
	s_cbranch_execz .LBB15_1805
; %bb.1800:
	s_mov_b32 s6, exec_lo
                                        ; implicit-def: $vgpr6
	v_cmpx_lt_u32_e32 0x387fffff, v10
	s_xor_b32 s6, exec_lo, s6
; %bb.1801:
	v_bfe_u32 v6, v5, 21, 1
	v_add3_u32 v6, v5, v6, 0x80fffff
	v_lshrrev_b32_e32 v6, 21, v6
; %bb.1802:
	s_andn2_saveexec_b32 s6, s6
; %bb.1803:
	v_add_f32_e64 v6, 0x43000000, |v5|
; %bb.1804:
	s_or_b32 exec_lo, exec_lo, s6
                                        ; implicit-def: $vgpr10
.LBB15_1805:
	s_andn2_saveexec_b32 s5, s5
; %bb.1806:
	v_mov_b32_e32 v6, 0x7f
	v_cmp_lt_u32_e32 vcc_lo, 0x7f800000, v10
	v_cndmask_b32_e32 v6, 0x7c, v6, vcc_lo
; %bb.1807:
	s_or_b32 exec_lo, exec_lo, s5
	v_lshrrev_b32_e32 v10, 24, v5
	v_and_or_b32 v6, 0x80, v10, v6
	global_store_byte v[8:9], v6, off
.LBB15_1808:
	s_mov_b32 s5, 0
	s_mov_b32 s6, -1
.LBB15_1809:
	s_andn2_b32 vcc_lo, exec_lo, s5
	s_mov_b32 s5, 0
	s_cbranch_vccnz .LBB15_1816
; %bb.1810:
	s_cmp_gt_i32 s4, 14
	s_mov_b32 s5, -1
	s_cbranch_scc0 .LBB15_1814
; %bb.1811:
	s_cmp_eq_u32 s4, 15
	s_mov_b32 s0, -1
	s_cbranch_scc0 .LBB15_1813
; %bb.1812:
	v_bfe_u32 v6, v5, 16, 1
	v_cmp_o_f32_e32 vcc_lo, v5, v5
	v_mov_b32_e32 v10, 0x7fc0
	s_mov_b32 s0, 0
	s_mov_b32 s6, -1
	v_add3_u32 v6, v5, v6, 0x7fff
	v_cndmask_b32_sdwa v6, v10, v6, vcc_lo dst_sel:DWORD dst_unused:UNUSED_PAD src0_sel:DWORD src1_sel:WORD_1
	global_store_short v[8:9], v6, off
.LBB15_1813:
	s_mov_b32 s5, 0
.LBB15_1814:
	s_and_b32 vcc_lo, exec_lo, s5
	s_mov_b32 s5, 0
	s_cbranch_vccz .LBB15_1816
; %bb.1815:
	s_cmp_lg_u32 s4, 11
	s_mov_b32 s5, -1
	s_cselect_b32 s0, -1, 0
.LBB15_1816:
	s_and_b32 vcc_lo, exec_lo, s0
	s_cbranch_vccnz .LBB15_2225
; %bb.1817:
	s_andn2_b32 vcc_lo, exec_lo, s5
	s_cbranch_vccnz .LBB15_1819
.LBB15_1818:
	v_cmp_neq_f32_e32 vcc_lo, 0, v5
	s_mov_b32 s6, -1
	v_cndmask_b32_e64 v6, 0, 1, vcc_lo
	global_store_byte v[8:9], v6, off
.LBB15_1819:
	s_mov_b32 s0, 0
	s_branch .LBB15_1866
.LBB15_1820:
	s_mov_b32 s0, 0
	s_mov_b32 s4, 0
                                        ; implicit-def: $vgpr0_vgpr1
                                        ; implicit-def: $sgpr1
                                        ; implicit-def: $vgpr7
.LBB15_1821:
	s_andn2_b32 s3, s12, exec_lo
	s_and_b32 s2, s2, exec_lo
	s_and_b32 s0, s0, exec_lo
	;; [unrolled: 1-line block ×3, first 2 shown]
	s_or_b32 s12, s3, s2
.LBB15_1822:
	s_or_b32 exec_lo, exec_lo, s13
	s_and_saveexec_b32 s2, s12
	s_cbranch_execz .LBB15_1825
; %bb.1823:
	; divergent unreachable
	s_or_b32 exec_lo, exec_lo, s2
	s_and_saveexec_b32 s2, s26
	s_xor_b32 s2, exec_lo, s2
	s_cbranch_execnz .LBB15_1826
.LBB15_1824:
	s_or_b32 exec_lo, exec_lo, s2
	s_and_saveexec_b32 s2, s0
	s_cbranch_execnz .LBB15_1827
	s_branch .LBB15_1864
.LBB15_1825:
	s_or_b32 exec_lo, exec_lo, s2
	s_and_saveexec_b32 s2, s26
	s_xor_b32 s2, exec_lo, s2
	s_cbranch_execz .LBB15_1824
.LBB15_1826:
	v_cmp_neq_f32_e32 vcc_lo, 0, v7
	v_cndmask_b32_e64 v2, 0, 1, vcc_lo
	s_waitcnt vmcnt(0)
	global_store_byte v[0:1], v2, off
	s_or_b32 exec_lo, exec_lo, s2
	s_and_saveexec_b32 s2, s0
	s_cbranch_execz .LBB15_1864
.LBB15_1827:
	s_sext_i32_i16 s2, s1
	s_mov_b32 s0, -1
	s_cmp_lt_i32 s2, 5
	s_cbranch_scc1 .LBB15_1848
; %bb.1828:
	s_cmp_lt_i32 s2, 8
	s_cbranch_scc1 .LBB15_1838
; %bb.1829:
	;; [unrolled: 3-line block ×3, first 2 shown]
	s_cmp_gt_i32 s2, 9
	s_cbranch_scc0 .LBB15_1832
; %bb.1831:
	s_waitcnt vmcnt(0)
	v_cvt_f64_f32_e32 v[2:3], v7
	v_mov_b32_e32 v4, 0
	s_mov_b32 s0, 0
	v_mov_b32_e32 v5, v4
	global_store_dwordx4 v[0:1], v[2:5], off
.LBB15_1832:
	s_andn2_b32 vcc_lo, exec_lo, s0
	s_cbranch_vccnz .LBB15_1834
; %bb.1833:
	v_mov_b32_e32 v8, 0
	s_waitcnt vmcnt(0)
	global_store_dwordx2 v[0:1], v[7:8], off
.LBB15_1834:
	s_mov_b32 s0, 0
.LBB15_1835:
	s_andn2_b32 vcc_lo, exec_lo, s0
	s_cbranch_vccnz .LBB15_1837
; %bb.1836:
	v_cvt_f16_f32_e32 v2, v7
	v_and_b32_e32 v2, 0xffff, v2
	s_waitcnt vmcnt(0)
	global_store_dword v[0:1], v2, off
.LBB15_1837:
	s_mov_b32 s0, 0
.LBB15_1838:
	s_andn2_b32 vcc_lo, exec_lo, s0
	s_cbranch_vccnz .LBB15_1847
; %bb.1839:
	s_sext_i32_i16 s2, s1
	s_mov_b32 s0, -1
	s_cmp_lt_i32 s2, 6
	s_cbranch_scc1 .LBB15_1845
; %bb.1840:
	s_cmp_gt_i32 s2, 6
	s_cbranch_scc0 .LBB15_1842
; %bb.1841:
	s_waitcnt vmcnt(0)
	v_cvt_f64_f32_e32 v[2:3], v7
	s_mov_b32 s0, 0
	global_store_dwordx2 v[0:1], v[2:3], off
.LBB15_1842:
	s_andn2_b32 vcc_lo, exec_lo, s0
	s_cbranch_vccnz .LBB15_1844
; %bb.1843:
	s_waitcnt vmcnt(0)
	global_store_dword v[0:1], v7, off
.LBB15_1844:
	s_mov_b32 s0, 0
.LBB15_1845:
	s_andn2_b32 vcc_lo, exec_lo, s0
	s_cbranch_vccnz .LBB15_1847
; %bb.1846:
	v_cvt_f16_f32_e32 v2, v7
	s_waitcnt vmcnt(0)
	global_store_short v[0:1], v2, off
.LBB15_1847:
	s_mov_b32 s0, 0
.LBB15_1848:
	s_andn2_b32 vcc_lo, exec_lo, s0
	s_cbranch_vccnz .LBB15_1864
; %bb.1849:
	s_sext_i32_i16 s2, s1
	s_mov_b32 s0, -1
	s_cmp_lt_i32 s2, 2
	s_cbranch_scc1 .LBB15_1859
; %bb.1850:
	s_cmp_lt_i32 s2, 3
	s_cbranch_scc1 .LBB15_1856
; %bb.1851:
	s_cmp_gt_i32 s2, 3
	s_cbranch_scc0 .LBB15_1853
; %bb.1852:
	v_trunc_f32_e32 v2, v7
	s_mov_b32 s0, 0
	s_waitcnt vmcnt(0)
	v_mul_f32_e64 v3, 0x2f800000, |v2|
	v_ashrrev_i32_e32 v5, 31, v2
	v_floor_f32_e32 v3, v3
	v_fma_f32 v4, 0xcf800000, v3, |v2|
	v_cvt_u32_f32_e32 v3, v3
	v_cvt_u32_f32_e32 v2, v4
	v_xor_b32_e32 v3, v3, v5
	v_xor_b32_e32 v2, v2, v5
	v_sub_co_u32 v2, vcc_lo, v2, v5
	v_sub_co_ci_u32_e64 v3, null, v3, v5, vcc_lo
	global_store_dwordx2 v[0:1], v[2:3], off
.LBB15_1853:
	s_andn2_b32 vcc_lo, exec_lo, s0
	s_cbranch_vccnz .LBB15_1855
; %bb.1854:
	v_cvt_i32_f32_e32 v2, v7
	s_waitcnt vmcnt(0)
	global_store_dword v[0:1], v2, off
.LBB15_1855:
	s_mov_b32 s0, 0
.LBB15_1856:
	s_andn2_b32 vcc_lo, exec_lo, s0
	s_cbranch_vccnz .LBB15_1858
; %bb.1857:
	v_cvt_i32_f32_e32 v2, v7
	s_waitcnt vmcnt(0)
	global_store_short v[0:1], v2, off
.LBB15_1858:
	s_mov_b32 s0, 0
.LBB15_1859:
	s_andn2_b32 vcc_lo, exec_lo, s0
	s_cbranch_vccnz .LBB15_1864
; %bb.1860:
	s_sext_i32_i16 s0, s1
	s_cmp_gt_i32 s0, 0
	s_mov_b32 s0, -1
	s_cbranch_scc0 .LBB15_1862
; %bb.1861:
	v_cvt_i32_f32_e32 v2, v7
	s_mov_b32 s0, 0
	s_waitcnt vmcnt(0)
	global_store_byte v[0:1], v2, off
.LBB15_1862:
	s_andn2_b32 vcc_lo, exec_lo, s0
	s_cbranch_vccnz .LBB15_1864
; %bb.1863:
	v_trunc_f32_e32 v2, v7
	s_waitcnt vmcnt(0)
	v_mul_f32_e64 v3, 0x2f800000, |v2|
	v_floor_f32_e32 v3, v3
	v_fma_f32 v3, 0xcf800000, v3, |v2|
	v_ashrrev_i32_e32 v2, 31, v2
	v_cvt_u32_f32_e32 v3, v3
	v_xor_b32_e32 v3, v3, v2
	v_sub_nc_u32_e32 v2, v3, v2
	global_store_byte v[0:1], v2, off
	s_endpgm
.LBB15_1864:
	s_endpgm
.LBB15_1865:
	s_mov_b32 s0, -1
	s_mov_b32 s6, 0
.LBB15_1866:
	s_and_b32 vcc_lo, exec_lo, s0
	s_cbranch_vccz .LBB15_1905
; %bb.1867:
	s_and_b32 s0, 0xffff, s1
	s_mov_b32 s1, -1
	s_cmp_lt_i32 s0, 5
	s_cbranch_scc1 .LBB15_1888
; %bb.1868:
	s_cmp_lt_i32 s0, 8
	s_cbranch_scc1 .LBB15_1878
; %bb.1869:
	;; [unrolled: 3-line block ×3, first 2 shown]
	s_cmp_gt_i32 s0, 9
	s_cbranch_scc0 .LBB15_1872
; %bb.1871:
	v_cvt_f64_f32_e32 v[10:11], v5
	v_mov_b32_e32 v12, 0
	s_mov_b32 s1, 0
	v_mov_b32_e32 v13, v12
	global_store_dwordx4 v[8:9], v[10:13], off
.LBB15_1872:
	s_andn2_b32 vcc_lo, exec_lo, s1
	s_cbranch_vccnz .LBB15_1874
; %bb.1873:
	v_mov_b32_e32 v6, 0
	global_store_dwordx2 v[8:9], v[5:6], off
.LBB15_1874:
	s_mov_b32 s1, 0
.LBB15_1875:
	s_andn2_b32 vcc_lo, exec_lo, s1
	s_cbranch_vccnz .LBB15_1877
; %bb.1876:
	v_cvt_f16_f32_e32 v6, v5
	v_and_b32_e32 v6, 0xffff, v6
	global_store_dword v[8:9], v6, off
.LBB15_1877:
	s_mov_b32 s1, 0
.LBB15_1878:
	s_andn2_b32 vcc_lo, exec_lo, s1
	s_cbranch_vccnz .LBB15_1887
; %bb.1879:
	s_cmp_lt_i32 s0, 6
	s_mov_b32 s1, -1
	s_cbranch_scc1 .LBB15_1885
; %bb.1880:
	s_cmp_gt_i32 s0, 6
	s_cbranch_scc0 .LBB15_1882
; %bb.1881:
	v_cvt_f64_f32_e32 v[10:11], v5
	s_mov_b32 s1, 0
	global_store_dwordx2 v[8:9], v[10:11], off
.LBB15_1882:
	s_andn2_b32 vcc_lo, exec_lo, s1
	s_cbranch_vccnz .LBB15_1884
; %bb.1883:
	global_store_dword v[8:9], v5, off
.LBB15_1884:
	s_mov_b32 s1, 0
.LBB15_1885:
	s_andn2_b32 vcc_lo, exec_lo, s1
	s_cbranch_vccnz .LBB15_1887
; %bb.1886:
	v_cvt_f16_f32_e32 v6, v5
	global_store_short v[8:9], v6, off
.LBB15_1887:
	s_mov_b32 s1, 0
.LBB15_1888:
	s_andn2_b32 vcc_lo, exec_lo, s1
	s_cbranch_vccnz .LBB15_1904
; %bb.1889:
	s_cmp_lt_i32 s0, 2
	s_mov_b32 s1, -1
	s_cbranch_scc1 .LBB15_1899
; %bb.1890:
	s_cmp_lt_i32 s0, 3
	s_cbranch_scc1 .LBB15_1896
; %bb.1891:
	s_cmp_gt_i32 s0, 3
	s_cbranch_scc0 .LBB15_1893
; %bb.1892:
	v_trunc_f32_e32 v6, v5
	s_mov_b32 s1, 0
	v_mul_f32_e64 v10, 0x2f800000, |v6|
	v_floor_f32_e32 v10, v10
	v_fma_f32 v11, 0xcf800000, v10, |v6|
	v_ashrrev_i32_e32 v6, 31, v6
	v_cvt_u32_f32_e32 v10, v10
	v_cvt_u32_f32_e32 v11, v11
	v_xor_b32_e32 v12, v10, v6
	v_xor_b32_e32 v11, v11, v6
	v_sub_co_u32 v10, vcc_lo, v11, v6
	v_sub_co_ci_u32_e64 v11, null, v12, v6, vcc_lo
	global_store_dwordx2 v[8:9], v[10:11], off
.LBB15_1893:
	s_andn2_b32 vcc_lo, exec_lo, s1
	s_cbranch_vccnz .LBB15_1895
; %bb.1894:
	v_cvt_i32_f32_e32 v6, v5
	global_store_dword v[8:9], v6, off
.LBB15_1895:
	s_mov_b32 s1, 0
.LBB15_1896:
	s_andn2_b32 vcc_lo, exec_lo, s1
	s_cbranch_vccnz .LBB15_1898
; %bb.1897:
	v_cvt_i32_f32_e32 v6, v5
	global_store_short v[8:9], v6, off
.LBB15_1898:
	s_mov_b32 s1, 0
.LBB15_1899:
	s_andn2_b32 vcc_lo, exec_lo, s1
	s_cbranch_vccnz .LBB15_1904
; %bb.1900:
	s_cmp_gt_i32 s0, 0
	s_mov_b32 s0, -1
	s_cbranch_scc0 .LBB15_1902
; %bb.1901:
	v_cvt_i32_f32_e32 v6, v5
	s_mov_b32 s0, 0
	global_store_byte v[8:9], v6, off
.LBB15_1902:
	s_andn2_b32 vcc_lo, exec_lo, s0
	s_cbranch_vccnz .LBB15_1904
; %bb.1903:
	v_trunc_f32_e32 v5, v5
	v_mul_f32_e64 v6, 0x2f800000, |v5|
	v_floor_f32_e32 v6, v6
	v_fma_f32 v6, 0xcf800000, v6, |v5|
	v_ashrrev_i32_e32 v5, 31, v5
	v_cvt_u32_f32_e32 v6, v6
	v_xor_b32_e32 v6, v6, v5
	v_sub_nc_u32_e32 v5, v6, v5
	global_store_byte v[8:9], v5, off
.LBB15_1904:
	s_mov_b32 s6, -1
.LBB15_1905:
	s_andn2_b32 vcc_lo, exec_lo, s6
	s_cbranch_vccnz .LBB15_2220
; %bb.1906:
	s_lshr_b32 s0, s3, 8
	s_and_b32 s1, s0, 0xff
	v_add_co_u32 v5, s0, s8, v4
	v_add_co_ci_u32_e64 v6, null, s9, 0, s0
	s_cmp_lt_i32 s1, 11
	s_cbranch_scc1 .LBB15_1984
; %bb.1907:
	s_and_b32 s3, 0xffff, s1
	s_mov_b32 s6, -1
	s_mov_b32 s4, 0
	s_cmp_gt_i32 s3, 25
	s_mov_b32 s5, 0
	s_mov_b32 s0, 0
	s_cbranch_scc0 .LBB15_1940
; %bb.1908:
	s_cmp_gt_i32 s3, 28
	s_cbranch_scc0 .LBB15_1923
; %bb.1909:
	s_cmp_gt_i32 s3, 43
	;; [unrolled: 3-line block ×3, first 2 shown]
	s_cbranch_scc0 .LBB15_1913
; %bb.1911:
	s_mov_b32 s0, -1
	s_mov_b32 s6, 0
	s_cmp_eq_u32 s3, 46
	s_cbranch_scc0 .LBB15_1913
; %bb.1912:
	v_bfe_u32 v4, v3, 16, 1
	v_cmp_o_f32_e32 vcc_lo, v3, v3
	v_mov_b32_e32 v8, 0x7fc0
	s_mov_b32 s0, 0
	s_mov_b32 s5, -1
	v_add3_u32 v4, v3, v4, 0x7fff
	v_cndmask_b32_sdwa v4, v8, v4, vcc_lo dst_sel:DWORD dst_unused:UNUSED_PAD src0_sel:DWORD src1_sel:WORD_1
	global_store_dword v[5:6], v4, off
.LBB15_1913:
	s_and_b32 vcc_lo, exec_lo, s6
	s_cbranch_vccz .LBB15_1918
; %bb.1914:
	s_cmp_eq_u32 s3, 44
	s_mov_b32 s0, -1
	s_cbranch_scc0 .LBB15_1918
; %bb.1915:
	v_bfe_u32 v8, v3, 23, 8
	v_mov_b32_e32 v4, 0xff
	s_mov_b32 s5, exec_lo
	v_cmpx_ne_u32_e32 0xff, v8
	s_cbranch_execz .LBB15_1917
; %bb.1916:
	v_and_b32_e32 v4, 0x400000, v3
	v_and_or_b32 v8, 0x3fffff, v3, v8
	v_cmp_ne_u32_e32 vcc_lo, 0, v4
	v_cmp_ne_u32_e64 s0, 0, v8
	v_lshrrev_b32_e32 v4, 23, v3
	s_and_b32 s0, vcc_lo, s0
	v_cndmask_b32_e64 v8, 0, 1, s0
	v_add_nc_u32_e32 v4, v4, v8
.LBB15_1917:
	s_or_b32 exec_lo, exec_lo, s5
	s_mov_b32 s0, 0
	s_mov_b32 s5, -1
	global_store_byte v[5:6], v4, off
.LBB15_1918:
	s_mov_b32 s6, 0
.LBB15_1919:
	s_and_b32 vcc_lo, exec_lo, s6
	s_cbranch_vccz .LBB15_1922
; %bb.1920:
	s_cmp_eq_u32 s3, 29
	s_mov_b32 s0, -1
	s_cbranch_scc0 .LBB15_1922
; %bb.1921:
	v_trunc_f32_e32 v4, v3
	s_mov_b32 s0, 0
	s_mov_b32 s5, -1
	v_mul_f32_e32 v8, 0x2f800000, v4
	v_floor_f32_e32 v8, v8
	v_fmamk_f32 v4, v8, 0xcf800000, v4
	v_cvt_u32_f32_e32 v9, v8
	v_cvt_u32_f32_e32 v8, v4
	global_store_dwordx2 v[5:6], v[8:9], off
.LBB15_1922:
	s_mov_b32 s6, 0
.LBB15_1923:
	s_and_b32 vcc_lo, exec_lo, s6
	s_cbranch_vccz .LBB15_1939
; %bb.1924:
	s_cmp_lt_i32 s3, 27
	s_mov_b32 s5, -1
	s_cbranch_scc1 .LBB15_1930
; %bb.1925:
	s_cmp_gt_i32 s3, 27
	s_cbranch_scc0 .LBB15_1927
; %bb.1926:
	v_cvt_u32_f32_e32 v4, v3
	s_mov_b32 s5, 0
	global_store_dword v[5:6], v4, off
.LBB15_1927:
	s_andn2_b32 vcc_lo, exec_lo, s5
	s_cbranch_vccnz .LBB15_1929
; %bb.1928:
	v_cvt_u32_f32_e32 v4, v3
	global_store_short v[5:6], v4, off
.LBB15_1929:
	s_mov_b32 s5, 0
.LBB15_1930:
	s_andn2_b32 vcc_lo, exec_lo, s5
	s_cbranch_vccnz .LBB15_1938
; %bb.1931:
	v_and_b32_e32 v4, 0x7fffffff, v3
	v_mov_b32_e32 v8, 0x80
	s_mov_b32 s5, exec_lo
	v_cmpx_gt_u32_e32 0x43800000, v4
	s_cbranch_execz .LBB15_1937
; %bb.1932:
	v_cmp_lt_u32_e32 vcc_lo, 0x3bffffff, v4
	s_mov_b32 s6, 0
                                        ; implicit-def: $vgpr4
	s_and_saveexec_b32 s7, vcc_lo
	s_xor_b32 s7, exec_lo, s7
	s_cbranch_execz .LBB15_2228
; %bb.1933:
	v_bfe_u32 v4, v3, 20, 1
	s_mov_b32 s6, exec_lo
	v_add3_u32 v4, v3, v4, 0x487ffff
	v_lshrrev_b32_e32 v4, 20, v4
	s_andn2_saveexec_b32 s7, s7
	s_cbranch_execnz .LBB15_2229
.LBB15_1934:
	s_or_b32 exec_lo, exec_lo, s7
	v_mov_b32_e32 v8, 0
	s_and_saveexec_b32 s7, s6
.LBB15_1935:
	v_lshrrev_b32_e32 v8, 24, v3
	v_and_or_b32 v8, 0x80, v8, v4
.LBB15_1936:
	s_or_b32 exec_lo, exec_lo, s7
.LBB15_1937:
	s_or_b32 exec_lo, exec_lo, s5
	global_store_byte v[5:6], v8, off
.LBB15_1938:
	s_mov_b32 s5, -1
.LBB15_1939:
	s_mov_b32 s6, 0
.LBB15_1940:
	s_and_b32 vcc_lo, exec_lo, s6
	s_cbranch_vccz .LBB15_1980
; %bb.1941:
	s_cmp_gt_i32 s3, 22
	s_mov_b32 s4, -1
	s_cbranch_scc0 .LBB15_1973
; %bb.1942:
	s_cmp_lt_i32 s3, 24
	s_cbranch_scc1 .LBB15_1962
; %bb.1943:
	s_cmp_gt_i32 s3, 24
	s_cbranch_scc0 .LBB15_1951
; %bb.1944:
	v_and_b32_e32 v4, 0x7fffffff, v3
	v_mov_b32_e32 v8, 0x80
	s_mov_b32 s4, exec_lo
	v_cmpx_gt_u32_e32 0x47800000, v4
	s_cbranch_execz .LBB15_1950
; %bb.1945:
	v_cmp_lt_u32_e32 vcc_lo, 0x37ffffff, v4
	s_mov_b32 s5, 0
                                        ; implicit-def: $vgpr4
	s_and_saveexec_b32 s6, vcc_lo
	s_xor_b32 s6, exec_lo, s6
	s_cbranch_execz .LBB15_2231
; %bb.1946:
	v_bfe_u32 v4, v3, 21, 1
	s_mov_b32 s5, exec_lo
	v_add3_u32 v4, v3, v4, 0x88fffff
	v_lshrrev_b32_e32 v4, 21, v4
	s_andn2_saveexec_b32 s6, s6
	s_cbranch_execnz .LBB15_2232
.LBB15_1947:
	s_or_b32 exec_lo, exec_lo, s6
	v_mov_b32_e32 v8, 0
	s_and_saveexec_b32 s6, s5
.LBB15_1948:
	v_lshrrev_b32_e32 v8, 24, v3
	v_and_or_b32 v8, 0x80, v8, v4
.LBB15_1949:
	s_or_b32 exec_lo, exec_lo, s6
.LBB15_1950:
	s_or_b32 exec_lo, exec_lo, s4
	s_mov_b32 s4, 0
	global_store_byte v[5:6], v8, off
.LBB15_1951:
	s_and_b32 vcc_lo, exec_lo, s4
	s_cbranch_vccz .LBB15_1961
; %bb.1952:
	v_and_b32_e32 v8, 0x7fffffff, v3
	s_mov_b32 s4, exec_lo
                                        ; implicit-def: $vgpr4
	v_cmpx_gt_u32_e32 0x43f00000, v8
	s_xor_b32 s4, exec_lo, s4
	s_cbranch_execz .LBB15_1958
; %bb.1953:
	s_mov_b32 s5, exec_lo
                                        ; implicit-def: $vgpr4
	v_cmpx_lt_u32_e32 0x3c7fffff, v8
	s_xor_b32 s5, exec_lo, s5
; %bb.1954:
	v_bfe_u32 v4, v3, 20, 1
	v_add3_u32 v4, v3, v4, 0x407ffff
	v_and_b32_e32 v8, 0xff00000, v4
	v_lshrrev_b32_e32 v4, 20, v4
	v_cmp_ne_u32_e32 vcc_lo, 0x7f00000, v8
	v_cndmask_b32_e32 v4, 0x7e, v4, vcc_lo
; %bb.1955:
	s_andn2_saveexec_b32 s5, s5
; %bb.1956:
	v_add_f32_e64 v4, 0x46800000, |v3|
; %bb.1957:
	s_or_b32 exec_lo, exec_lo, s5
                                        ; implicit-def: $vgpr8
.LBB15_1958:
	s_andn2_saveexec_b32 s4, s4
; %bb.1959:
	v_mov_b32_e32 v4, 0x7f
	v_cmp_lt_u32_e32 vcc_lo, 0x7f800000, v8
	v_cndmask_b32_e32 v4, 0x7e, v4, vcc_lo
; %bb.1960:
	s_or_b32 exec_lo, exec_lo, s4
	v_lshrrev_b32_e32 v8, 24, v3
	v_and_or_b32 v4, 0x80, v8, v4
	global_store_byte v[5:6], v4, off
.LBB15_1961:
	s_mov_b32 s4, 0
.LBB15_1962:
	s_andn2_b32 vcc_lo, exec_lo, s4
	s_cbranch_vccnz .LBB15_1972
; %bb.1963:
	v_and_b32_e32 v8, 0x7fffffff, v3
	s_mov_b32 s4, exec_lo
                                        ; implicit-def: $vgpr4
	v_cmpx_gt_u32_e32 0x47800000, v8
	s_xor_b32 s4, exec_lo, s4
	s_cbranch_execz .LBB15_1969
; %bb.1964:
	s_mov_b32 s5, exec_lo
                                        ; implicit-def: $vgpr4
	v_cmpx_lt_u32_e32 0x387fffff, v8
	s_xor_b32 s5, exec_lo, s5
; %bb.1965:
	v_bfe_u32 v4, v3, 21, 1
	v_add3_u32 v4, v3, v4, 0x80fffff
	v_lshrrev_b32_e32 v4, 21, v4
; %bb.1966:
	s_andn2_saveexec_b32 s5, s5
; %bb.1967:
	v_add_f32_e64 v4, 0x43000000, |v3|
; %bb.1968:
	s_or_b32 exec_lo, exec_lo, s5
                                        ; implicit-def: $vgpr8
.LBB15_1969:
	s_andn2_saveexec_b32 s4, s4
; %bb.1970:
	v_mov_b32_e32 v4, 0x7f
	v_cmp_lt_u32_e32 vcc_lo, 0x7f800000, v8
	v_cndmask_b32_e32 v4, 0x7c, v4, vcc_lo
; %bb.1971:
	s_or_b32 exec_lo, exec_lo, s4
	v_lshrrev_b32_e32 v8, 24, v3
	v_and_or_b32 v4, 0x80, v8, v4
	global_store_byte v[5:6], v4, off
.LBB15_1972:
	s_mov_b32 s4, 0
	s_mov_b32 s5, -1
.LBB15_1973:
	s_andn2_b32 vcc_lo, exec_lo, s4
	s_mov_b32 s4, 0
	s_cbranch_vccnz .LBB15_1980
; %bb.1974:
	s_cmp_gt_i32 s3, 14
	s_mov_b32 s4, -1
	s_cbranch_scc0 .LBB15_1978
; %bb.1975:
	s_cmp_eq_u32 s3, 15
	s_mov_b32 s0, -1
	s_cbranch_scc0 .LBB15_1977
; %bb.1976:
	v_bfe_u32 v4, v3, 16, 1
	v_cmp_o_f32_e32 vcc_lo, v3, v3
	v_mov_b32_e32 v8, 0x7fc0
	s_mov_b32 s0, 0
	s_mov_b32 s5, -1
	v_add3_u32 v4, v3, v4, 0x7fff
	v_cndmask_b32_sdwa v4, v8, v4, vcc_lo dst_sel:DWORD dst_unused:UNUSED_PAD src0_sel:DWORD src1_sel:WORD_1
	global_store_short v[5:6], v4, off
.LBB15_1977:
	s_mov_b32 s4, 0
.LBB15_1978:
	s_and_b32 vcc_lo, exec_lo, s4
	s_mov_b32 s4, 0
	s_cbranch_vccz .LBB15_1980
; %bb.1979:
	s_cmp_lg_u32 s3, 11
	s_mov_b32 s4, -1
	s_cselect_b32 s0, -1, 0
.LBB15_1980:
	s_and_b32 vcc_lo, exec_lo, s0
	s_cbranch_vccnz .LBB15_2230
; %bb.1981:
	s_andn2_b32 vcc_lo, exec_lo, s4
	s_cbranch_vccnz .LBB15_1983
.LBB15_1982:
	v_cmp_neq_f32_e32 vcc_lo, 0, v3
	s_mov_b32 s5, -1
	v_cndmask_b32_e64 v4, 0, 1, vcc_lo
	global_store_byte v[5:6], v4, off
.LBB15_1983:
	s_mov_b32 s0, 0
	s_branch .LBB15_1985
.LBB15_1984:
	s_mov_b32 s0, -1
	s_mov_b32 s5, 0
.LBB15_1985:
	s_and_b32 vcc_lo, exec_lo, s0
	s_cbranch_vccz .LBB15_2024
; %bb.1986:
	s_and_b32 s0, 0xffff, s1
	s_mov_b32 s3, -1
	s_cmp_lt_i32 s0, 5
	s_cbranch_scc1 .LBB15_2007
; %bb.1987:
	s_cmp_lt_i32 s0, 8
	s_cbranch_scc1 .LBB15_1997
; %bb.1988:
	;; [unrolled: 3-line block ×3, first 2 shown]
	s_cmp_gt_i32 s0, 9
	s_cbranch_scc0 .LBB15_1991
; %bb.1990:
	v_cvt_f64_f32_e32 v[8:9], v3
	v_mov_b32_e32 v10, 0
	s_mov_b32 s3, 0
	v_mov_b32_e32 v11, v10
	global_store_dwordx4 v[5:6], v[8:11], off
.LBB15_1991:
	s_andn2_b32 vcc_lo, exec_lo, s3
	s_cbranch_vccnz .LBB15_1993
; %bb.1992:
	v_mov_b32_e32 v4, 0
	global_store_dwordx2 v[5:6], v[3:4], off
.LBB15_1993:
	s_mov_b32 s3, 0
.LBB15_1994:
	s_andn2_b32 vcc_lo, exec_lo, s3
	s_cbranch_vccnz .LBB15_1996
; %bb.1995:
	v_cvt_f16_f32_e32 v4, v3
	v_and_b32_e32 v4, 0xffff, v4
	global_store_dword v[5:6], v4, off
.LBB15_1996:
	s_mov_b32 s3, 0
.LBB15_1997:
	s_andn2_b32 vcc_lo, exec_lo, s3
	s_cbranch_vccnz .LBB15_2006
; %bb.1998:
	s_cmp_lt_i32 s0, 6
	s_mov_b32 s3, -1
	s_cbranch_scc1 .LBB15_2004
; %bb.1999:
	s_cmp_gt_i32 s0, 6
	s_cbranch_scc0 .LBB15_2001
; %bb.2000:
	v_cvt_f64_f32_e32 v[8:9], v3
	s_mov_b32 s3, 0
	global_store_dwordx2 v[5:6], v[8:9], off
.LBB15_2001:
	s_andn2_b32 vcc_lo, exec_lo, s3
	s_cbranch_vccnz .LBB15_2003
; %bb.2002:
	global_store_dword v[5:6], v3, off
.LBB15_2003:
	s_mov_b32 s3, 0
.LBB15_2004:
	s_andn2_b32 vcc_lo, exec_lo, s3
	s_cbranch_vccnz .LBB15_2006
; %bb.2005:
	v_cvt_f16_f32_e32 v4, v3
	global_store_short v[5:6], v4, off
.LBB15_2006:
	s_mov_b32 s3, 0
.LBB15_2007:
	s_andn2_b32 vcc_lo, exec_lo, s3
	s_cbranch_vccnz .LBB15_2023
; %bb.2008:
	s_cmp_lt_i32 s0, 2
	s_mov_b32 s3, -1
	s_cbranch_scc1 .LBB15_2018
; %bb.2009:
	s_cmp_lt_i32 s0, 3
	s_cbranch_scc1 .LBB15_2015
; %bb.2010:
	s_cmp_gt_i32 s0, 3
	s_cbranch_scc0 .LBB15_2012
; %bb.2011:
	v_trunc_f32_e32 v4, v3
	s_mov_b32 s3, 0
	v_mul_f32_e64 v8, 0x2f800000, |v4|
	v_floor_f32_e32 v8, v8
	v_fma_f32 v9, 0xcf800000, v8, |v4|
	v_ashrrev_i32_e32 v4, 31, v4
	v_cvt_u32_f32_e32 v8, v8
	v_cvt_u32_f32_e32 v9, v9
	v_xor_b32_e32 v10, v8, v4
	v_xor_b32_e32 v9, v9, v4
	v_sub_co_u32 v8, vcc_lo, v9, v4
	v_sub_co_ci_u32_e64 v9, null, v10, v4, vcc_lo
	global_store_dwordx2 v[5:6], v[8:9], off
.LBB15_2012:
	s_andn2_b32 vcc_lo, exec_lo, s3
	s_cbranch_vccnz .LBB15_2014
; %bb.2013:
	v_cvt_i32_f32_e32 v4, v3
	global_store_dword v[5:6], v4, off
.LBB15_2014:
	s_mov_b32 s3, 0
.LBB15_2015:
	s_andn2_b32 vcc_lo, exec_lo, s3
	s_cbranch_vccnz .LBB15_2017
; %bb.2016:
	v_cvt_i32_f32_e32 v4, v3
	global_store_short v[5:6], v4, off
.LBB15_2017:
	s_mov_b32 s3, 0
.LBB15_2018:
	s_andn2_b32 vcc_lo, exec_lo, s3
	s_cbranch_vccnz .LBB15_2023
; %bb.2019:
	s_cmp_gt_i32 s0, 0
	s_mov_b32 s0, -1
	s_cbranch_scc0 .LBB15_2021
; %bb.2020:
	v_cvt_i32_f32_e32 v4, v3
	s_mov_b32 s0, 0
	global_store_byte v[5:6], v4, off
.LBB15_2021:
	s_andn2_b32 vcc_lo, exec_lo, s0
	s_cbranch_vccnz .LBB15_2023
; %bb.2022:
	v_trunc_f32_e32 v3, v3
	v_mul_f32_e64 v4, 0x2f800000, |v3|
	v_floor_f32_e32 v4, v4
	v_fma_f32 v4, 0xcf800000, v4, |v3|
	v_ashrrev_i32_e32 v3, 31, v3
	v_cvt_u32_f32_e32 v4, v4
	v_xor_b32_e32 v4, v4, v3
	v_sub_nc_u32_e32 v3, v4, v3
	global_store_byte v[5:6], v3, off
.LBB15_2023:
	s_mov_b32 s5, -1
.LBB15_2024:
	s_andn2_b32 vcc_lo, exec_lo, s5
	s_cbranch_vccnz .LBB15_2220
; %bb.2025:
	v_add_co_u32 v3, s0, s8, v2
	v_add_co_ci_u32_e64 v4, null, s9, 0, s0
	s_cmp_lt_i32 s1, 11
	s_cbranch_scc1 .LBB15_2103
; %bb.2026:
	s_and_b32 s3, 0xffff, s1
	s_mov_b32 s6, -1
	s_mov_b32 s4, 0
	s_cmp_gt_i32 s3, 25
	s_mov_b32 s5, 0
	s_mov_b32 s0, 0
	s_cbranch_scc0 .LBB15_2059
; %bb.2027:
	s_cmp_gt_i32 s3, 28
	s_cbranch_scc0 .LBB15_2042
; %bb.2028:
	s_cmp_gt_i32 s3, 43
	;; [unrolled: 3-line block ×3, first 2 shown]
	s_cbranch_scc0 .LBB15_2032
; %bb.2030:
	s_mov_b32 s0, -1
	s_mov_b32 s6, 0
	s_cmp_eq_u32 s3, 46
	s_cbranch_scc0 .LBB15_2032
; %bb.2031:
	v_bfe_u32 v2, v1, 16, 1
	v_cmp_o_f32_e32 vcc_lo, v1, v1
	v_mov_b32_e32 v5, 0x7fc0
	s_mov_b32 s0, 0
	s_mov_b32 s5, -1
	v_add3_u32 v2, v1, v2, 0x7fff
	v_cndmask_b32_sdwa v2, v5, v2, vcc_lo dst_sel:DWORD dst_unused:UNUSED_PAD src0_sel:DWORD src1_sel:WORD_1
	global_store_dword v[3:4], v2, off
.LBB15_2032:
	s_and_b32 vcc_lo, exec_lo, s6
	s_cbranch_vccz .LBB15_2037
; %bb.2033:
	s_cmp_eq_u32 s3, 44
	s_mov_b32 s0, -1
	s_cbranch_scc0 .LBB15_2037
; %bb.2034:
	v_bfe_u32 v5, v1, 23, 8
	v_mov_b32_e32 v2, 0xff
	s_mov_b32 s5, exec_lo
	v_cmpx_ne_u32_e32 0xff, v5
	s_cbranch_execz .LBB15_2036
; %bb.2035:
	v_and_b32_e32 v2, 0x400000, v1
	v_and_or_b32 v5, 0x3fffff, v1, v5
	v_cmp_ne_u32_e32 vcc_lo, 0, v2
	v_cmp_ne_u32_e64 s0, 0, v5
	v_lshrrev_b32_e32 v2, 23, v1
	s_and_b32 s0, vcc_lo, s0
	v_cndmask_b32_e64 v5, 0, 1, s0
	v_add_nc_u32_e32 v2, v2, v5
.LBB15_2036:
	s_or_b32 exec_lo, exec_lo, s5
	s_mov_b32 s0, 0
	s_mov_b32 s5, -1
	global_store_byte v[3:4], v2, off
.LBB15_2037:
	s_mov_b32 s6, 0
.LBB15_2038:
	s_and_b32 vcc_lo, exec_lo, s6
	s_cbranch_vccz .LBB15_2041
; %bb.2039:
	s_cmp_eq_u32 s3, 29
	s_mov_b32 s0, -1
	s_cbranch_scc0 .LBB15_2041
; %bb.2040:
	v_trunc_f32_e32 v2, v1
	s_mov_b32 s0, 0
	s_mov_b32 s5, -1
	v_mul_f32_e32 v5, 0x2f800000, v2
	v_floor_f32_e32 v5, v5
	v_fmamk_f32 v2, v5, 0xcf800000, v2
	v_cvt_u32_f32_e32 v6, v5
	v_cvt_u32_f32_e32 v5, v2
	global_store_dwordx2 v[3:4], v[5:6], off
.LBB15_2041:
	s_mov_b32 s6, 0
.LBB15_2042:
	s_and_b32 vcc_lo, exec_lo, s6
	s_cbranch_vccz .LBB15_2058
; %bb.2043:
	s_cmp_lt_i32 s3, 27
	s_mov_b32 s5, -1
	s_cbranch_scc1 .LBB15_2049
; %bb.2044:
	v_cvt_u32_f32_e32 v2, v1
	s_cmp_gt_i32 s3, 27
	s_cbranch_scc0 .LBB15_2046
; %bb.2045:
	s_mov_b32 s5, 0
	global_store_dword v[3:4], v2, off
.LBB15_2046:
	s_andn2_b32 vcc_lo, exec_lo, s5
	s_cbranch_vccnz .LBB15_2048
; %bb.2047:
	global_store_short v[3:4], v2, off
.LBB15_2048:
	s_mov_b32 s5, 0
.LBB15_2049:
	s_andn2_b32 vcc_lo, exec_lo, s5
	s_cbranch_vccnz .LBB15_2057
; %bb.2050:
	v_and_b32_e32 v2, 0x7fffffff, v1
	v_mov_b32_e32 v5, 0x80
	s_mov_b32 s5, exec_lo
	v_cmpx_gt_u32_e32 0x43800000, v2
	s_cbranch_execz .LBB15_2056
; %bb.2051:
	v_cmp_lt_u32_e32 vcc_lo, 0x3bffffff, v2
	s_mov_b32 s6, 0
                                        ; implicit-def: $vgpr2
	s_and_saveexec_b32 s7, vcc_lo
	s_xor_b32 s7, exec_lo, s7
	s_cbranch_execz .LBB15_2233
; %bb.2052:
	v_bfe_u32 v2, v1, 20, 1
	s_mov_b32 s6, exec_lo
	v_add3_u32 v2, v1, v2, 0x487ffff
	v_lshrrev_b32_e32 v2, 20, v2
	s_andn2_saveexec_b32 s7, s7
	s_cbranch_execnz .LBB15_2234
.LBB15_2053:
	s_or_b32 exec_lo, exec_lo, s7
	v_mov_b32_e32 v5, 0
	s_and_saveexec_b32 s7, s6
.LBB15_2054:
	v_lshrrev_b32_e32 v5, 24, v1
	v_and_or_b32 v5, 0x80, v5, v2
.LBB15_2055:
	s_or_b32 exec_lo, exec_lo, s7
.LBB15_2056:
	s_or_b32 exec_lo, exec_lo, s5
	global_store_byte v[3:4], v5, off
.LBB15_2057:
	s_mov_b32 s5, -1
.LBB15_2058:
	s_mov_b32 s6, 0
.LBB15_2059:
	s_and_b32 vcc_lo, exec_lo, s6
	s_cbranch_vccz .LBB15_2099
; %bb.2060:
	s_cmp_gt_i32 s3, 22
	s_mov_b32 s4, -1
	s_cbranch_scc0 .LBB15_2092
; %bb.2061:
	s_cmp_lt_i32 s3, 24
	s_cbranch_scc1 .LBB15_2081
; %bb.2062:
	s_cmp_gt_i32 s3, 24
	s_cbranch_scc0 .LBB15_2070
; %bb.2063:
	v_and_b32_e32 v2, 0x7fffffff, v1
	v_mov_b32_e32 v5, 0x80
	s_mov_b32 s4, exec_lo
	v_cmpx_gt_u32_e32 0x47800000, v2
	s_cbranch_execz .LBB15_2069
; %bb.2064:
	v_cmp_lt_u32_e32 vcc_lo, 0x37ffffff, v2
	s_mov_b32 s5, 0
                                        ; implicit-def: $vgpr2
	s_and_saveexec_b32 s6, vcc_lo
	s_xor_b32 s6, exec_lo, s6
	s_cbranch_execz .LBB15_2236
; %bb.2065:
	v_bfe_u32 v2, v1, 21, 1
	s_mov_b32 s5, exec_lo
	v_add3_u32 v2, v1, v2, 0x88fffff
	v_lshrrev_b32_e32 v2, 21, v2
	s_andn2_saveexec_b32 s6, s6
	s_cbranch_execnz .LBB15_2237
.LBB15_2066:
	s_or_b32 exec_lo, exec_lo, s6
	v_mov_b32_e32 v5, 0
	s_and_saveexec_b32 s6, s5
.LBB15_2067:
	v_lshrrev_b32_e32 v5, 24, v1
	v_and_or_b32 v5, 0x80, v5, v2
.LBB15_2068:
	s_or_b32 exec_lo, exec_lo, s6
.LBB15_2069:
	s_or_b32 exec_lo, exec_lo, s4
	s_mov_b32 s4, 0
	global_store_byte v[3:4], v5, off
.LBB15_2070:
	s_and_b32 vcc_lo, exec_lo, s4
	s_cbranch_vccz .LBB15_2080
; %bb.2071:
	v_and_b32_e32 v5, 0x7fffffff, v1
	s_mov_b32 s4, exec_lo
                                        ; implicit-def: $vgpr2
	v_cmpx_gt_u32_e32 0x43f00000, v5
	s_xor_b32 s4, exec_lo, s4
	s_cbranch_execz .LBB15_2077
; %bb.2072:
	s_mov_b32 s5, exec_lo
                                        ; implicit-def: $vgpr2
	v_cmpx_lt_u32_e32 0x3c7fffff, v5
	s_xor_b32 s5, exec_lo, s5
; %bb.2073:
	v_bfe_u32 v2, v1, 20, 1
	v_add3_u32 v2, v1, v2, 0x407ffff
	v_and_b32_e32 v5, 0xff00000, v2
	v_lshrrev_b32_e32 v2, 20, v2
	v_cmp_ne_u32_e32 vcc_lo, 0x7f00000, v5
	v_cndmask_b32_e32 v2, 0x7e, v2, vcc_lo
; %bb.2074:
	s_andn2_saveexec_b32 s5, s5
; %bb.2075:
	v_add_f32_e64 v2, 0x46800000, |v1|
; %bb.2076:
	s_or_b32 exec_lo, exec_lo, s5
                                        ; implicit-def: $vgpr5
.LBB15_2077:
	s_andn2_saveexec_b32 s4, s4
; %bb.2078:
	v_mov_b32_e32 v2, 0x7f
	v_cmp_lt_u32_e32 vcc_lo, 0x7f800000, v5
	v_cndmask_b32_e32 v2, 0x7e, v2, vcc_lo
; %bb.2079:
	s_or_b32 exec_lo, exec_lo, s4
	v_lshrrev_b32_e32 v5, 24, v1
	v_and_or_b32 v2, 0x80, v5, v2
	global_store_byte v[3:4], v2, off
.LBB15_2080:
	s_mov_b32 s4, 0
.LBB15_2081:
	s_andn2_b32 vcc_lo, exec_lo, s4
	s_cbranch_vccnz .LBB15_2091
; %bb.2082:
	v_and_b32_e32 v5, 0x7fffffff, v1
	s_mov_b32 s4, exec_lo
                                        ; implicit-def: $vgpr2
	v_cmpx_gt_u32_e32 0x47800000, v5
	s_xor_b32 s4, exec_lo, s4
	s_cbranch_execz .LBB15_2088
; %bb.2083:
	s_mov_b32 s5, exec_lo
                                        ; implicit-def: $vgpr2
	v_cmpx_lt_u32_e32 0x387fffff, v5
	s_xor_b32 s5, exec_lo, s5
; %bb.2084:
	v_bfe_u32 v2, v1, 21, 1
	v_add3_u32 v2, v1, v2, 0x80fffff
	v_lshrrev_b32_e32 v2, 21, v2
; %bb.2085:
	s_andn2_saveexec_b32 s5, s5
; %bb.2086:
	v_add_f32_e64 v2, 0x43000000, |v1|
; %bb.2087:
	s_or_b32 exec_lo, exec_lo, s5
                                        ; implicit-def: $vgpr5
.LBB15_2088:
	s_andn2_saveexec_b32 s4, s4
; %bb.2089:
	v_mov_b32_e32 v2, 0x7f
	v_cmp_lt_u32_e32 vcc_lo, 0x7f800000, v5
	v_cndmask_b32_e32 v2, 0x7c, v2, vcc_lo
; %bb.2090:
	s_or_b32 exec_lo, exec_lo, s4
	v_lshrrev_b32_e32 v5, 24, v1
	v_and_or_b32 v2, 0x80, v5, v2
	global_store_byte v[3:4], v2, off
.LBB15_2091:
	s_mov_b32 s4, 0
	s_mov_b32 s5, -1
.LBB15_2092:
	s_andn2_b32 vcc_lo, exec_lo, s4
	s_mov_b32 s4, 0
	s_cbranch_vccnz .LBB15_2099
; %bb.2093:
	s_cmp_gt_i32 s3, 14
	s_mov_b32 s4, -1
	s_cbranch_scc0 .LBB15_2097
; %bb.2094:
	s_cmp_eq_u32 s3, 15
	s_mov_b32 s0, -1
	s_cbranch_scc0 .LBB15_2096
; %bb.2095:
	v_bfe_u32 v2, v1, 16, 1
	v_cmp_o_f32_e32 vcc_lo, v1, v1
	v_mov_b32_e32 v5, 0x7fc0
	s_mov_b32 s0, 0
	s_mov_b32 s5, -1
	v_add3_u32 v2, v1, v2, 0x7fff
	v_cndmask_b32_sdwa v2, v5, v2, vcc_lo dst_sel:DWORD dst_unused:UNUSED_PAD src0_sel:DWORD src1_sel:WORD_1
	global_store_short v[3:4], v2, off
.LBB15_2096:
	s_mov_b32 s4, 0
.LBB15_2097:
	s_and_b32 vcc_lo, exec_lo, s4
	s_mov_b32 s4, 0
	s_cbranch_vccz .LBB15_2099
; %bb.2098:
	s_cmp_lg_u32 s3, 11
	s_mov_b32 s4, -1
	s_cselect_b32 s0, -1, 0
.LBB15_2099:
	s_and_b32 vcc_lo, exec_lo, s0
	s_cbranch_vccnz .LBB15_2235
; %bb.2100:
	s_andn2_b32 vcc_lo, exec_lo, s4
	s_cbranch_vccnz .LBB15_2102
.LBB15_2101:
	v_cmp_neq_f32_e32 vcc_lo, 0, v1
	s_mov_b32 s5, -1
	v_cndmask_b32_e64 v2, 0, 1, vcc_lo
	global_store_byte v[3:4], v2, off
.LBB15_2102:
	s_mov_b32 s0, 0
	s_branch .LBB15_2104
.LBB15_2103:
	s_mov_b32 s0, -1
	s_mov_b32 s5, 0
.LBB15_2104:
	s_and_b32 vcc_lo, exec_lo, s0
	s_cbranch_vccz .LBB15_2143
; %bb.2105:
	s_and_b32 s0, 0xffff, s1
	s_mov_b32 s3, -1
	s_cmp_lt_i32 s0, 5
	s_cbranch_scc1 .LBB15_2126
; %bb.2106:
	s_cmp_lt_i32 s0, 8
	s_cbranch_scc1 .LBB15_2116
; %bb.2107:
	;; [unrolled: 3-line block ×3, first 2 shown]
	s_cmp_gt_i32 s0, 9
	s_cbranch_scc0 .LBB15_2110
; %bb.2109:
	v_cvt_f64_f32_e32 v[8:9], v1
	v_mov_b32_e32 v10, 0
	s_mov_b32 s3, 0
	v_mov_b32_e32 v11, v10
	global_store_dwordx4 v[3:4], v[8:11], off
.LBB15_2110:
	s_andn2_b32 vcc_lo, exec_lo, s3
	s_cbranch_vccnz .LBB15_2112
; %bb.2111:
	v_mov_b32_e32 v2, 0
	global_store_dwordx2 v[3:4], v[1:2], off
.LBB15_2112:
	s_mov_b32 s3, 0
.LBB15_2113:
	s_andn2_b32 vcc_lo, exec_lo, s3
	s_cbranch_vccnz .LBB15_2115
; %bb.2114:
	v_cvt_f16_f32_e32 v2, v1
	v_and_b32_e32 v2, 0xffff, v2
	global_store_dword v[3:4], v2, off
.LBB15_2115:
	s_mov_b32 s3, 0
.LBB15_2116:
	s_andn2_b32 vcc_lo, exec_lo, s3
	s_cbranch_vccnz .LBB15_2125
; %bb.2117:
	s_cmp_lt_i32 s0, 6
	s_mov_b32 s3, -1
	s_cbranch_scc1 .LBB15_2123
; %bb.2118:
	s_cmp_gt_i32 s0, 6
	s_cbranch_scc0 .LBB15_2120
; %bb.2119:
	v_cvt_f64_f32_e32 v[5:6], v1
	s_mov_b32 s3, 0
	global_store_dwordx2 v[3:4], v[5:6], off
.LBB15_2120:
	s_andn2_b32 vcc_lo, exec_lo, s3
	s_cbranch_vccnz .LBB15_2122
; %bb.2121:
	global_store_dword v[3:4], v1, off
.LBB15_2122:
	s_mov_b32 s3, 0
.LBB15_2123:
	s_andn2_b32 vcc_lo, exec_lo, s3
	s_cbranch_vccnz .LBB15_2125
; %bb.2124:
	v_cvt_f16_f32_e32 v2, v1
	global_store_short v[3:4], v2, off
.LBB15_2125:
	s_mov_b32 s3, 0
.LBB15_2126:
	s_andn2_b32 vcc_lo, exec_lo, s3
	s_cbranch_vccnz .LBB15_2142
; %bb.2127:
	s_cmp_lt_i32 s0, 2
	s_mov_b32 s3, -1
	s_cbranch_scc1 .LBB15_2137
; %bb.2128:
	s_cmp_lt_i32 s0, 3
	s_cbranch_scc1 .LBB15_2134
; %bb.2129:
	s_cmp_gt_i32 s0, 3
	s_cbranch_scc0 .LBB15_2131
; %bb.2130:
	v_trunc_f32_e32 v2, v1
	s_mov_b32 s3, 0
	v_mul_f32_e64 v5, 0x2f800000, |v2|
	v_floor_f32_e32 v5, v5
	v_fma_f32 v6, 0xcf800000, v5, |v2|
	v_ashrrev_i32_e32 v2, 31, v2
	v_cvt_u32_f32_e32 v5, v5
	v_cvt_u32_f32_e32 v6, v6
	v_xor_b32_e32 v8, v5, v2
	v_xor_b32_e32 v6, v6, v2
	v_sub_co_u32 v5, vcc_lo, v6, v2
	v_sub_co_ci_u32_e64 v6, null, v8, v2, vcc_lo
	global_store_dwordx2 v[3:4], v[5:6], off
.LBB15_2131:
	s_andn2_b32 vcc_lo, exec_lo, s3
	s_cbranch_vccnz .LBB15_2133
; %bb.2132:
	v_cvt_i32_f32_e32 v2, v1
	global_store_dword v[3:4], v2, off
.LBB15_2133:
	s_mov_b32 s3, 0
.LBB15_2134:
	s_andn2_b32 vcc_lo, exec_lo, s3
	s_cbranch_vccnz .LBB15_2136
; %bb.2135:
	v_cvt_i32_f32_e32 v2, v1
	global_store_short v[3:4], v2, off
.LBB15_2136:
	s_mov_b32 s3, 0
.LBB15_2137:
	s_andn2_b32 vcc_lo, exec_lo, s3
	s_cbranch_vccnz .LBB15_2142
; %bb.2138:
	s_cmp_gt_i32 s0, 0
	s_mov_b32 s0, -1
	s_cbranch_scc0 .LBB15_2140
; %bb.2139:
	v_cvt_i32_f32_e32 v2, v1
	s_mov_b32 s0, 0
	global_store_byte v[3:4], v2, off
.LBB15_2140:
	s_andn2_b32 vcc_lo, exec_lo, s0
	s_cbranch_vccnz .LBB15_2142
; %bb.2141:
	v_trunc_f32_e32 v1, v1
	v_mul_f32_e64 v2, 0x2f800000, |v1|
	v_floor_f32_e32 v2, v2
	v_fma_f32 v2, 0xcf800000, v2, |v1|
	v_ashrrev_i32_e32 v1, 31, v1
	v_cvt_u32_f32_e32 v2, v2
	v_xor_b32_e32 v2, v2, v1
	v_sub_nc_u32_e32 v1, v2, v1
	global_store_byte v[3:4], v1, off
.LBB15_2142:
	s_mov_b32 s5, -1
.LBB15_2143:
	s_andn2_b32 vcc_lo, exec_lo, s5
	s_cbranch_vccnz .LBB15_2220
; %bb.2144:
	v_add_co_u32 v0, s0, s8, v0
	v_add_co_ci_u32_e64 v1, null, s9, 0, s0
	s_cmp_lt_i32 s1, 11
	s_cbranch_scc1 .LBB15_2221
; %bb.2145:
	s_and_b32 s3, 0xffff, s1
	s_mov_b32 s5, -1
	s_mov_b32 s4, 0
	s_cmp_gt_i32 s3, 25
	s_mov_b32 s0, 0
	s_cbranch_scc0 .LBB15_2178
; %bb.2146:
	s_cmp_gt_i32 s3, 28
	s_cbranch_scc0 .LBB15_2162
; %bb.2147:
	s_cmp_gt_i32 s3, 43
	s_cbranch_scc0 .LBB15_2158
; %bb.2148:
	s_cmp_gt_i32 s3, 45
	s_cbranch_scc0 .LBB15_2152
; %bb.2149:
	s_cmp_eq_u32 s3, 46
	s_mov_b32 s0, -1
	s_cbranch_scc0 .LBB15_2151
; %bb.2150:
	v_bfe_u32 v2, v7, 16, 1
	v_cmp_o_f32_e32 vcc_lo, v7, v7
	v_mov_b32_e32 v3, 0x7fc0
	s_mov_b32 s0, 0
	v_add3_u32 v2, v7, v2, 0x7fff
	v_cndmask_b32_sdwa v2, v3, v2, vcc_lo dst_sel:DWORD dst_unused:UNUSED_PAD src0_sel:DWORD src1_sel:WORD_1
	global_store_dword v[0:1], v2, off
.LBB15_2151:
	s_mov_b32 s5, 0
.LBB15_2152:
	s_and_b32 vcc_lo, exec_lo, s5
	s_cbranch_vccz .LBB15_2157
; %bb.2153:
	s_cmp_eq_u32 s3, 44
	s_mov_b32 s0, -1
	s_cbranch_scc0 .LBB15_2157
; %bb.2154:
	v_bfe_u32 v3, v7, 23, 8
	v_mov_b32_e32 v2, 0xff
	s_mov_b32 s5, exec_lo
	v_cmpx_ne_u32_e32 0xff, v3
	s_cbranch_execz .LBB15_2156
; %bb.2155:
	v_and_b32_e32 v2, 0x400000, v7
	v_and_or_b32 v3, 0x3fffff, v7, v3
	v_cmp_ne_u32_e32 vcc_lo, 0, v2
	v_cmp_ne_u32_e64 s0, 0, v3
	v_lshrrev_b32_e32 v2, 23, v7
	s_and_b32 s0, vcc_lo, s0
	v_cndmask_b32_e64 v3, 0, 1, s0
	v_add_nc_u32_e32 v2, v2, v3
.LBB15_2156:
	s_or_b32 exec_lo, exec_lo, s5
	s_mov_b32 s0, 0
	global_store_byte v[0:1], v2, off
.LBB15_2157:
	s_mov_b32 s5, 0
.LBB15_2158:
	s_and_b32 vcc_lo, exec_lo, s5
	s_cbranch_vccz .LBB15_2161
; %bb.2159:
	s_cmp_eq_u32 s3, 29
	s_mov_b32 s0, -1
	s_cbranch_scc0 .LBB15_2161
; %bb.2160:
	v_trunc_f32_e32 v2, v7
	s_mov_b32 s0, 0
	v_mul_f32_e32 v3, 0x2f800000, v2
	v_floor_f32_e32 v3, v3
	v_fmamk_f32 v2, v3, 0xcf800000, v2
	v_cvt_u32_f32_e32 v3, v3
	v_cvt_u32_f32_e32 v2, v2
	global_store_dwordx2 v[0:1], v[2:3], off
.LBB15_2161:
	s_mov_b32 s5, 0
.LBB15_2162:
	s_and_b32 vcc_lo, exec_lo, s5
	s_cbranch_vccz .LBB15_2177
; %bb.2163:
	s_cmp_lt_i32 s3, 27
	s_mov_b32 s5, -1
	s_cbranch_scc1 .LBB15_2169
; %bb.2164:
	s_cmp_gt_i32 s3, 27
	s_cbranch_scc0 .LBB15_2166
; %bb.2165:
	v_cvt_u32_f32_e32 v2, v7
	s_mov_b32 s5, 0
	global_store_dword v[0:1], v2, off
.LBB15_2166:
	s_andn2_b32 vcc_lo, exec_lo, s5
	s_cbranch_vccnz .LBB15_2168
; %bb.2167:
	v_cvt_u32_f32_e32 v2, v7
	global_store_short v[0:1], v2, off
.LBB15_2168:
	s_mov_b32 s5, 0
.LBB15_2169:
	s_andn2_b32 vcc_lo, exec_lo, s5
	s_cbranch_vccnz .LBB15_2177
; %bb.2170:
	v_and_b32_e32 v2, 0x7fffffff, v7
	v_mov_b32_e32 v3, 0x80
	s_mov_b32 s5, exec_lo
	v_cmpx_gt_u32_e32 0x43800000, v2
	s_cbranch_execz .LBB15_2176
; %bb.2171:
	v_cmp_lt_u32_e32 vcc_lo, 0x3bffffff, v2
	s_mov_b32 s6, 0
                                        ; implicit-def: $vgpr2
	s_and_saveexec_b32 s7, vcc_lo
	s_xor_b32 s7, exec_lo, s7
	s_cbranch_execz .LBB15_2238
; %bb.2172:
	v_bfe_u32 v2, v7, 20, 1
	s_mov_b32 s6, exec_lo
	v_add3_u32 v2, v7, v2, 0x487ffff
	v_lshrrev_b32_e32 v2, 20, v2
	s_andn2_saveexec_b32 s7, s7
	s_cbranch_execnz .LBB15_2239
.LBB15_2173:
	s_or_b32 exec_lo, exec_lo, s7
	v_mov_b32_e32 v3, 0
	s_and_saveexec_b32 s7, s6
.LBB15_2174:
	v_lshrrev_b32_e32 v3, 24, v7
	v_and_or_b32 v3, 0x80, v3, v2
.LBB15_2175:
	s_or_b32 exec_lo, exec_lo, s7
.LBB15_2176:
	s_or_b32 exec_lo, exec_lo, s5
	global_store_byte v[0:1], v3, off
.LBB15_2177:
	s_mov_b32 s5, 0
.LBB15_2178:
	s_and_b32 vcc_lo, exec_lo, s5
	s_cbranch_vccz .LBB15_2218
; %bb.2179:
	s_cmp_gt_i32 s3, 22
	s_mov_b32 s4, -1
	s_cbranch_scc0 .LBB15_2211
; %bb.2180:
	s_cmp_lt_i32 s3, 24
	s_cbranch_scc1 .LBB15_2200
; %bb.2181:
	s_cmp_gt_i32 s3, 24
	s_cbranch_scc0 .LBB15_2189
; %bb.2182:
	v_and_b32_e32 v2, 0x7fffffff, v7
	v_mov_b32_e32 v3, 0x80
	s_mov_b32 s4, exec_lo
	v_cmpx_gt_u32_e32 0x47800000, v2
	s_cbranch_execz .LBB15_2188
; %bb.2183:
	v_cmp_lt_u32_e32 vcc_lo, 0x37ffffff, v2
	s_mov_b32 s5, 0
                                        ; implicit-def: $vgpr2
	s_and_saveexec_b32 s6, vcc_lo
	s_xor_b32 s6, exec_lo, s6
	s_cbranch_execz .LBB15_2241
; %bb.2184:
	v_bfe_u32 v2, v7, 21, 1
	s_mov_b32 s5, exec_lo
	v_add3_u32 v2, v7, v2, 0x88fffff
	v_lshrrev_b32_e32 v2, 21, v2
	s_andn2_saveexec_b32 s6, s6
	s_cbranch_execnz .LBB15_2242
.LBB15_2185:
	s_or_b32 exec_lo, exec_lo, s6
	v_mov_b32_e32 v3, 0
	s_and_saveexec_b32 s6, s5
.LBB15_2186:
	v_lshrrev_b32_e32 v3, 24, v7
	v_and_or_b32 v3, 0x80, v3, v2
.LBB15_2187:
	s_or_b32 exec_lo, exec_lo, s6
.LBB15_2188:
	s_or_b32 exec_lo, exec_lo, s4
	s_mov_b32 s4, 0
	global_store_byte v[0:1], v3, off
.LBB15_2189:
	s_and_b32 vcc_lo, exec_lo, s4
	s_cbranch_vccz .LBB15_2199
; %bb.2190:
	v_and_b32_e32 v3, 0x7fffffff, v7
	s_mov_b32 s4, exec_lo
                                        ; implicit-def: $vgpr2
	v_cmpx_gt_u32_e32 0x43f00000, v3
	s_xor_b32 s4, exec_lo, s4
	s_cbranch_execz .LBB15_2196
; %bb.2191:
	s_mov_b32 s5, exec_lo
                                        ; implicit-def: $vgpr2
	v_cmpx_lt_u32_e32 0x3c7fffff, v3
	s_xor_b32 s5, exec_lo, s5
; %bb.2192:
	v_bfe_u32 v2, v7, 20, 1
	v_add3_u32 v2, v7, v2, 0x407ffff
	v_and_b32_e32 v3, 0xff00000, v2
	v_lshrrev_b32_e32 v2, 20, v2
	v_cmp_ne_u32_e32 vcc_lo, 0x7f00000, v3
	v_cndmask_b32_e32 v2, 0x7e, v2, vcc_lo
; %bb.2193:
	s_andn2_saveexec_b32 s5, s5
; %bb.2194:
	v_add_f32_e64 v2, 0x46800000, |v7|
; %bb.2195:
	s_or_b32 exec_lo, exec_lo, s5
                                        ; implicit-def: $vgpr3
.LBB15_2196:
	s_andn2_saveexec_b32 s4, s4
; %bb.2197:
	v_mov_b32_e32 v2, 0x7f
	v_cmp_lt_u32_e32 vcc_lo, 0x7f800000, v3
	v_cndmask_b32_e32 v2, 0x7e, v2, vcc_lo
; %bb.2198:
	s_or_b32 exec_lo, exec_lo, s4
	v_lshrrev_b32_e32 v3, 24, v7
	v_and_or_b32 v2, 0x80, v3, v2
	global_store_byte v[0:1], v2, off
.LBB15_2199:
	s_mov_b32 s4, 0
.LBB15_2200:
	s_andn2_b32 vcc_lo, exec_lo, s4
	s_cbranch_vccnz .LBB15_2210
; %bb.2201:
	v_and_b32_e32 v3, 0x7fffffff, v7
	s_mov_b32 s4, exec_lo
                                        ; implicit-def: $vgpr2
	v_cmpx_gt_u32_e32 0x47800000, v3
	s_xor_b32 s4, exec_lo, s4
	s_cbranch_execz .LBB15_2207
; %bb.2202:
	s_mov_b32 s5, exec_lo
                                        ; implicit-def: $vgpr2
	v_cmpx_lt_u32_e32 0x387fffff, v3
	s_xor_b32 s5, exec_lo, s5
; %bb.2203:
	v_bfe_u32 v2, v7, 21, 1
	v_add3_u32 v2, v7, v2, 0x80fffff
	v_lshrrev_b32_e32 v2, 21, v2
; %bb.2204:
	s_andn2_saveexec_b32 s5, s5
; %bb.2205:
	v_add_f32_e64 v2, 0x43000000, |v7|
; %bb.2206:
	s_or_b32 exec_lo, exec_lo, s5
                                        ; implicit-def: $vgpr3
.LBB15_2207:
	s_andn2_saveexec_b32 s4, s4
; %bb.2208:
	v_mov_b32_e32 v2, 0x7f
	v_cmp_lt_u32_e32 vcc_lo, 0x7f800000, v3
	v_cndmask_b32_e32 v2, 0x7c, v2, vcc_lo
; %bb.2209:
	s_or_b32 exec_lo, exec_lo, s4
	v_lshrrev_b32_e32 v3, 24, v7
	v_and_or_b32 v2, 0x80, v3, v2
	global_store_byte v[0:1], v2, off
.LBB15_2210:
	s_mov_b32 s4, 0
.LBB15_2211:
	s_andn2_b32 vcc_lo, exec_lo, s4
	s_mov_b32 s4, 0
	s_cbranch_vccnz .LBB15_2218
; %bb.2212:
	s_cmp_gt_i32 s3, 14
	s_mov_b32 s4, -1
	s_cbranch_scc0 .LBB15_2216
; %bb.2213:
	s_cmp_eq_u32 s3, 15
	s_mov_b32 s0, -1
	s_cbranch_scc0 .LBB15_2215
; %bb.2214:
	v_bfe_u32 v2, v7, 16, 1
	v_cmp_o_f32_e32 vcc_lo, v7, v7
	v_mov_b32_e32 v3, 0x7fc0
	s_mov_b32 s0, 0
	v_add3_u32 v2, v7, v2, 0x7fff
	v_cndmask_b32_sdwa v2, v3, v2, vcc_lo dst_sel:DWORD dst_unused:UNUSED_PAD src0_sel:DWORD src1_sel:WORD_1
	global_store_short v[0:1], v2, off
.LBB15_2215:
	s_mov_b32 s4, 0
.LBB15_2216:
	s_and_b32 vcc_lo, exec_lo, s4
	s_mov_b32 s4, 0
	s_cbranch_vccz .LBB15_2218
; %bb.2217:
	s_cmp_lg_u32 s3, 11
	s_mov_b32 s4, -1
	s_cselect_b32 s0, -1, 0
.LBB15_2218:
	s_and_b32 vcc_lo, exec_lo, s0
	s_cbranch_vccnz .LBB15_2240
.LBB15_2219:
	s_mov_b32 s0, 0
	s_branch .LBB15_1821
.LBB15_2220:
	s_mov_b32 s0, 0
	s_mov_b32 s4, 0
                                        ; implicit-def: $vgpr0_vgpr1
                                        ; implicit-def: $sgpr1
	s_branch .LBB15_1821
.LBB15_2221:
	s_mov_b32 s4, 0
	s_mov_b32 s0, -1
	s_branch .LBB15_1821
.LBB15_2222:
	s_or_b32 s2, s2, exec_lo
	s_trap 2
	s_cbranch_execz .LBB15_1680
	s_branch .LBB15_1681
.LBB15_2223:
	s_andn2_saveexec_b32 s10, s10
	s_cbranch_execz .LBB15_1770
.LBB15_2224:
	v_add_f32_e64 v6, 0x46000000, |v5|
	s_andn2_b32 s7, s7, exec_lo
	v_and_b32_e32 v6, 0xff, v6
	v_cmp_ne_u32_e32 vcc_lo, 0, v6
	s_and_b32 s11, vcc_lo, exec_lo
	s_or_b32 s7, s7, s11
	s_or_b32 exec_lo, exec_lo, s10
	v_mov_b32_e32 v10, 0
	s_and_saveexec_b32 s10, s7
	s_cbranch_execnz .LBB15_1771
	s_branch .LBB15_1772
.LBB15_2225:
	s_or_b32 s2, s2, exec_lo
	s_trap 2
	s_cbranch_execz .LBB15_1818
	s_branch .LBB15_1819
.LBB15_2226:
	s_andn2_saveexec_b32 s7, s7
	s_cbranch_execz .LBB15_1783
.LBB15_2227:
	v_add_f32_e64 v6, 0x42800000, |v5|
	s_andn2_b32 s6, s6, exec_lo
	v_and_b32_e32 v6, 0xff, v6
	v_cmp_ne_u32_e32 vcc_lo, 0, v6
	s_and_b32 s10, vcc_lo, exec_lo
	s_or_b32 s6, s6, s10
	s_or_b32 exec_lo, exec_lo, s7
	v_mov_b32_e32 v10, 0
	s_and_saveexec_b32 s7, s6
	s_cbranch_execnz .LBB15_1784
	s_branch .LBB15_1785
.LBB15_2228:
	s_andn2_saveexec_b32 s7, s7
	s_cbranch_execz .LBB15_1934
.LBB15_2229:
	v_add_f32_e64 v4, 0x46000000, |v3|
	s_andn2_b32 s6, s6, exec_lo
	v_and_b32_e32 v4, 0xff, v4
	v_cmp_ne_u32_e32 vcc_lo, 0, v4
	s_and_b32 s10, vcc_lo, exec_lo
	s_or_b32 s6, s6, s10
	s_or_b32 exec_lo, exec_lo, s7
	v_mov_b32_e32 v8, 0
	s_and_saveexec_b32 s7, s6
	s_cbranch_execnz .LBB15_1935
	s_branch .LBB15_1936
.LBB15_2230:
	s_or_b32 s2, s2, exec_lo
	s_trap 2
	s_cbranch_execz .LBB15_1982
	s_branch .LBB15_1983
.LBB15_2231:
	s_andn2_saveexec_b32 s6, s6
	s_cbranch_execz .LBB15_1947
.LBB15_2232:
	v_add_f32_e64 v4, 0x42800000, |v3|
	s_andn2_b32 s5, s5, exec_lo
	v_and_b32_e32 v4, 0xff, v4
	v_cmp_ne_u32_e32 vcc_lo, 0, v4
	s_and_b32 s7, vcc_lo, exec_lo
	s_or_b32 s5, s5, s7
	s_or_b32 exec_lo, exec_lo, s6
	v_mov_b32_e32 v8, 0
	s_and_saveexec_b32 s6, s5
	s_cbranch_execnz .LBB15_1948
	s_branch .LBB15_1949
.LBB15_2233:
	s_andn2_saveexec_b32 s7, s7
	s_cbranch_execz .LBB15_2053
.LBB15_2234:
	v_add_f32_e64 v2, 0x46000000, |v1|
	s_andn2_b32 s6, s6, exec_lo
	v_and_b32_e32 v2, 0xff, v2
	v_cmp_ne_u32_e32 vcc_lo, 0, v2
	s_and_b32 s10, vcc_lo, exec_lo
	s_or_b32 s6, s6, s10
	s_or_b32 exec_lo, exec_lo, s7
	v_mov_b32_e32 v5, 0
	s_and_saveexec_b32 s7, s6
	s_cbranch_execnz .LBB15_2054
	s_branch .LBB15_2055
.LBB15_2235:
	s_or_b32 s2, s2, exec_lo
	s_trap 2
	s_cbranch_execz .LBB15_2101
	s_branch .LBB15_2102
.LBB15_2236:
	s_andn2_saveexec_b32 s6, s6
	s_cbranch_execz .LBB15_2066
.LBB15_2237:
	v_add_f32_e64 v2, 0x42800000, |v1|
	s_andn2_b32 s5, s5, exec_lo
	v_and_b32_e32 v2, 0xff, v2
	v_cmp_ne_u32_e32 vcc_lo, 0, v2
	s_and_b32 s7, vcc_lo, exec_lo
	s_or_b32 s5, s5, s7
	s_or_b32 exec_lo, exec_lo, s6
	v_mov_b32_e32 v5, 0
	s_and_saveexec_b32 s6, s5
	s_cbranch_execnz .LBB15_2067
	s_branch .LBB15_2068
.LBB15_2238:
	s_andn2_saveexec_b32 s7, s7
	s_cbranch_execz .LBB15_2173
.LBB15_2239:
	v_add_f32_e64 v2, 0x46000000, |v7|
	s_andn2_b32 s6, s6, exec_lo
	v_and_b32_e32 v2, 0xff, v2
	v_cmp_ne_u32_e32 vcc_lo, 0, v2
	s_and_b32 s8, vcc_lo, exec_lo
	s_or_b32 s6, s6, s8
	s_or_b32 exec_lo, exec_lo, s7
	v_mov_b32_e32 v3, 0
	s_and_saveexec_b32 s7, s6
	s_cbranch_execnz .LBB15_2174
	s_branch .LBB15_2175
.LBB15_2240:
	s_mov_b32 s4, 0
	s_or_b32 s2, s2, exec_lo
	s_trap 2
	s_branch .LBB15_2219
.LBB15_2241:
	s_andn2_saveexec_b32 s6, s6
	s_cbranch_execz .LBB15_2185
.LBB15_2242:
	v_add_f32_e64 v2, 0x42800000, |v7|
	s_andn2_b32 s5, s5, exec_lo
	v_and_b32_e32 v2, 0xff, v2
	v_cmp_ne_u32_e32 vcc_lo, 0, v2
	s_and_b32 s7, vcc_lo, exec_lo
	s_or_b32 s5, s5, s7
	s_or_b32 exec_lo, exec_lo, s6
	v_mov_b32_e32 v3, 0
	s_and_saveexec_b32 s6, s5
	s_cbranch_execnz .LBB15_2186
	s_branch .LBB15_2187
	.section	.rodata,"a",@progbits
	.p2align	6, 0x0
	.amdhsa_kernel _ZN2at6native32elementwise_kernel_manual_unrollILi128ELi4EZNS0_15gpu_kernel_implIZZZNS0_12_GLOBAL__N_131spherical_bessel_j0_kernel_cudaERNS_18TensorIteratorBaseEENKUlvE_clEvENKUlvE0_clEvEUlfE_EEvS5_RKT_EUlibE0_EEviT1_
		.amdhsa_group_segment_fixed_size 0
		.amdhsa_private_segment_fixed_size 0
		.amdhsa_kernarg_size 360
		.amdhsa_user_sgpr_count 6
		.amdhsa_user_sgpr_private_segment_buffer 1
		.amdhsa_user_sgpr_dispatch_ptr 0
		.amdhsa_user_sgpr_queue_ptr 0
		.amdhsa_user_sgpr_kernarg_segment_ptr 1
		.amdhsa_user_sgpr_dispatch_id 0
		.amdhsa_user_sgpr_flat_scratch_init 0
		.amdhsa_user_sgpr_private_segment_size 0
		.amdhsa_wavefront_size32 1
		.amdhsa_uses_dynamic_stack 0
		.amdhsa_system_sgpr_private_segment_wavefront_offset 0
		.amdhsa_system_sgpr_workgroup_id_x 1
		.amdhsa_system_sgpr_workgroup_id_y 0
		.amdhsa_system_sgpr_workgroup_id_z 0
		.amdhsa_system_sgpr_workgroup_info 0
		.amdhsa_system_vgpr_workitem_id 0
		.amdhsa_next_free_vgpr 21
		.amdhsa_next_free_sgpr 68
		.amdhsa_reserve_vcc 1
		.amdhsa_reserve_flat_scratch 0
		.amdhsa_float_round_mode_32 0
		.amdhsa_float_round_mode_16_64 0
		.amdhsa_float_denorm_mode_32 3
		.amdhsa_float_denorm_mode_16_64 3
		.amdhsa_dx10_clamp 1
		.amdhsa_ieee_mode 1
		.amdhsa_fp16_overflow 0
		.amdhsa_workgroup_processor_mode 1
		.amdhsa_memory_ordered 1
		.amdhsa_forward_progress 1
		.amdhsa_shared_vgpr_count 0
		.amdhsa_exception_fp_ieee_invalid_op 0
		.amdhsa_exception_fp_denorm_src 0
		.amdhsa_exception_fp_ieee_div_zero 0
		.amdhsa_exception_fp_ieee_overflow 0
		.amdhsa_exception_fp_ieee_underflow 0
		.amdhsa_exception_fp_ieee_inexact 0
		.amdhsa_exception_int_div_zero 0
	.end_amdhsa_kernel
	.section	.text._ZN2at6native32elementwise_kernel_manual_unrollILi128ELi4EZNS0_15gpu_kernel_implIZZZNS0_12_GLOBAL__N_131spherical_bessel_j0_kernel_cudaERNS_18TensorIteratorBaseEENKUlvE_clEvENKUlvE0_clEvEUlfE_EEvS5_RKT_EUlibE0_EEviT1_,"axG",@progbits,_ZN2at6native32elementwise_kernel_manual_unrollILi128ELi4EZNS0_15gpu_kernel_implIZZZNS0_12_GLOBAL__N_131spherical_bessel_j0_kernel_cudaERNS_18TensorIteratorBaseEENKUlvE_clEvENKUlvE0_clEvEUlfE_EEvS5_RKT_EUlibE0_EEviT1_,comdat
.Lfunc_end15:
	.size	_ZN2at6native32elementwise_kernel_manual_unrollILi128ELi4EZNS0_15gpu_kernel_implIZZZNS0_12_GLOBAL__N_131spherical_bessel_j0_kernel_cudaERNS_18TensorIteratorBaseEENKUlvE_clEvENKUlvE0_clEvEUlfE_EEvS5_RKT_EUlibE0_EEviT1_, .Lfunc_end15-_ZN2at6native32elementwise_kernel_manual_unrollILi128ELi4EZNS0_15gpu_kernel_implIZZZNS0_12_GLOBAL__N_131spherical_bessel_j0_kernel_cudaERNS_18TensorIteratorBaseEENKUlvE_clEvENKUlvE0_clEvEUlfE_EEvS5_RKT_EUlibE0_EEviT1_
                                        ; -- End function
	.set _ZN2at6native32elementwise_kernel_manual_unrollILi128ELi4EZNS0_15gpu_kernel_implIZZZNS0_12_GLOBAL__N_131spherical_bessel_j0_kernel_cudaERNS_18TensorIteratorBaseEENKUlvE_clEvENKUlvE0_clEvEUlfE_EEvS5_RKT_EUlibE0_EEviT1_.num_vgpr, 21
	.set _ZN2at6native32elementwise_kernel_manual_unrollILi128ELi4EZNS0_15gpu_kernel_implIZZZNS0_12_GLOBAL__N_131spherical_bessel_j0_kernel_cudaERNS_18TensorIteratorBaseEENKUlvE_clEvENKUlvE0_clEvEUlfE_EEvS5_RKT_EUlibE0_EEviT1_.num_agpr, 0
	.set _ZN2at6native32elementwise_kernel_manual_unrollILi128ELi4EZNS0_15gpu_kernel_implIZZZNS0_12_GLOBAL__N_131spherical_bessel_j0_kernel_cudaERNS_18TensorIteratorBaseEENKUlvE_clEvENKUlvE0_clEvEUlfE_EEvS5_RKT_EUlibE0_EEviT1_.numbered_sgpr, 68
	.set _ZN2at6native32elementwise_kernel_manual_unrollILi128ELi4EZNS0_15gpu_kernel_implIZZZNS0_12_GLOBAL__N_131spherical_bessel_j0_kernel_cudaERNS_18TensorIteratorBaseEENKUlvE_clEvENKUlvE0_clEvEUlfE_EEvS5_RKT_EUlibE0_EEviT1_.num_named_barrier, 0
	.set _ZN2at6native32elementwise_kernel_manual_unrollILi128ELi4EZNS0_15gpu_kernel_implIZZZNS0_12_GLOBAL__N_131spherical_bessel_j0_kernel_cudaERNS_18TensorIteratorBaseEENKUlvE_clEvENKUlvE0_clEvEUlfE_EEvS5_RKT_EUlibE0_EEviT1_.private_seg_size, 0
	.set _ZN2at6native32elementwise_kernel_manual_unrollILi128ELi4EZNS0_15gpu_kernel_implIZZZNS0_12_GLOBAL__N_131spherical_bessel_j0_kernel_cudaERNS_18TensorIteratorBaseEENKUlvE_clEvENKUlvE0_clEvEUlfE_EEvS5_RKT_EUlibE0_EEviT1_.uses_vcc, 1
	.set _ZN2at6native32elementwise_kernel_manual_unrollILi128ELi4EZNS0_15gpu_kernel_implIZZZNS0_12_GLOBAL__N_131spherical_bessel_j0_kernel_cudaERNS_18TensorIteratorBaseEENKUlvE_clEvENKUlvE0_clEvEUlfE_EEvS5_RKT_EUlibE0_EEviT1_.uses_flat_scratch, 0
	.set _ZN2at6native32elementwise_kernel_manual_unrollILi128ELi4EZNS0_15gpu_kernel_implIZZZNS0_12_GLOBAL__N_131spherical_bessel_j0_kernel_cudaERNS_18TensorIteratorBaseEENKUlvE_clEvENKUlvE0_clEvEUlfE_EEvS5_RKT_EUlibE0_EEviT1_.has_dyn_sized_stack, 0
	.set _ZN2at6native32elementwise_kernel_manual_unrollILi128ELi4EZNS0_15gpu_kernel_implIZZZNS0_12_GLOBAL__N_131spherical_bessel_j0_kernel_cudaERNS_18TensorIteratorBaseEENKUlvE_clEvENKUlvE0_clEvEUlfE_EEvS5_RKT_EUlibE0_EEviT1_.has_recursion, 0
	.set _ZN2at6native32elementwise_kernel_manual_unrollILi128ELi4EZNS0_15gpu_kernel_implIZZZNS0_12_GLOBAL__N_131spherical_bessel_j0_kernel_cudaERNS_18TensorIteratorBaseEENKUlvE_clEvENKUlvE0_clEvEUlfE_EEvS5_RKT_EUlibE0_EEviT1_.has_indirect_call, 0
	.section	.AMDGPU.csdata,"",@progbits
; Kernel info:
; codeLenInByte = 44880
; TotalNumSgprs: 70
; NumVgprs: 21
; ScratchSize: 0
; MemoryBound: 1
; FloatMode: 240
; IeeeMode: 1
; LDSByteSize: 0 bytes/workgroup (compile time only)
; SGPRBlocks: 0
; VGPRBlocks: 2
; NumSGPRsForWavesPerEU: 70
; NumVGPRsForWavesPerEU: 21
; Occupancy: 16
; WaveLimiterHint : 1
; COMPUTE_PGM_RSRC2:SCRATCH_EN: 0
; COMPUTE_PGM_RSRC2:USER_SGPR: 6
; COMPUTE_PGM_RSRC2:TRAP_HANDLER: 0
; COMPUTE_PGM_RSRC2:TGID_X_EN: 1
; COMPUTE_PGM_RSRC2:TGID_Y_EN: 0
; COMPUTE_PGM_RSRC2:TGID_Z_EN: 0
; COMPUTE_PGM_RSRC2:TIDIG_COMP_CNT: 0
	.section	.AMDGPU.gpr_maximums,"",@progbits
	.set amdgpu.max_num_vgpr, 0
	.set amdgpu.max_num_agpr, 0
	.set amdgpu.max_num_sgpr, 0
	.section	.AMDGPU.csdata,"",@progbits
	.type	__hip_cuid_910226ff797ef9eb,@object ; @__hip_cuid_910226ff797ef9eb
	.section	.bss,"aw",@nobits
	.globl	__hip_cuid_910226ff797ef9eb
__hip_cuid_910226ff797ef9eb:
	.byte	0                               ; 0x0
	.size	__hip_cuid_910226ff797ef9eb, 1

	.ident	"AMD clang version 22.0.0git (https://github.com/RadeonOpenCompute/llvm-project roc-7.2.4 26084 f58b06dce1f9c15707c5f808fd002e18c2accf7e)"
	.section	".note.GNU-stack","",@progbits
	.addrsig
	.addrsig_sym __hip_cuid_910226ff797ef9eb
	.amdgpu_metadata
---
amdhsa.kernels:
  - .args:
      - .offset:         0
        .size:           4
        .value_kind:     by_value
      - .offset:         4
        .size:           1
        .value_kind:     by_value
      - .offset:         8
        .size:           16
        .value_kind:     by_value
    .group_segment_fixed_size: 0
    .kernarg_segment_align: 8
    .kernarg_segment_size: 24
    .language:       OpenCL C
    .language_version:
      - 2
      - 0
    .max_flat_workgroup_size: 256
    .name:           _ZN2at6native29vectorized_elementwise_kernelILi16EZZZNS0_12_GLOBAL__N_131spherical_bessel_j0_kernel_cudaERNS_18TensorIteratorBaseEENKUlvE_clEvENKUlvE_clEvEUldE_St5arrayIPcLm2EEEEviT0_T1_
    .private_segment_fixed_size: 0
    .sgpr_count:     20
    .sgpr_spill_count: 0
    .symbol:         _ZN2at6native29vectorized_elementwise_kernelILi16EZZZNS0_12_GLOBAL__N_131spherical_bessel_j0_kernel_cudaERNS_18TensorIteratorBaseEENKUlvE_clEvENKUlvE_clEvEUldE_St5arrayIPcLm2EEEEviT0_T1_.kd
    .uniform_work_group_size: 1
    .uses_dynamic_stack: false
    .vgpr_count:     46
    .vgpr_spill_count: 0
    .wavefront_size: 32
    .workgroup_processor_mode: 1
  - .args:
      - .offset:         0
        .size:           4
        .value_kind:     by_value
      - .offset:         4
        .size:           1
        .value_kind:     by_value
      - .offset:         8
        .size:           16
        .value_kind:     by_value
    .group_segment_fixed_size: 0
    .kernarg_segment_align: 8
    .kernarg_segment_size: 24
    .language:       OpenCL C
    .language_version:
      - 2
      - 0
    .max_flat_workgroup_size: 256
    .name:           _ZN2at6native29vectorized_elementwise_kernelILi8EZZZNS0_12_GLOBAL__N_131spherical_bessel_j0_kernel_cudaERNS_18TensorIteratorBaseEENKUlvE_clEvENKUlvE_clEvEUldE_St5arrayIPcLm2EEEEviT0_T1_
    .private_segment_fixed_size: 0
    .sgpr_count:     20
    .sgpr_spill_count: 0
    .symbol:         _ZN2at6native29vectorized_elementwise_kernelILi8EZZZNS0_12_GLOBAL__N_131spherical_bessel_j0_kernel_cudaERNS_18TensorIteratorBaseEENKUlvE_clEvENKUlvE_clEvEUldE_St5arrayIPcLm2EEEEviT0_T1_.kd
    .uniform_work_group_size: 1
    .uses_dynamic_stack: false
    .vgpr_count:     46
    .vgpr_spill_count: 0
    .wavefront_size: 32
    .workgroup_processor_mode: 1
  - .args:
      - .offset:         0
        .size:           4
        .value_kind:     by_value
      - .offset:         4
        .size:           1
        .value_kind:     by_value
      - .offset:         8
        .size:           16
        .value_kind:     by_value
    .group_segment_fixed_size: 0
    .kernarg_segment_align: 8
    .kernarg_segment_size: 24
    .language:       OpenCL C
    .language_version:
      - 2
      - 0
    .max_flat_workgroup_size: 256
    .name:           _ZN2at6native29vectorized_elementwise_kernelILi4EZZZNS0_12_GLOBAL__N_131spherical_bessel_j0_kernel_cudaERNS_18TensorIteratorBaseEENKUlvE_clEvENKUlvE_clEvEUldE_St5arrayIPcLm2EEEEviT0_T1_
    .private_segment_fixed_size: 0
    .sgpr_count:     20
    .sgpr_spill_count: 0
    .symbol:         _ZN2at6native29vectorized_elementwise_kernelILi4EZZZNS0_12_GLOBAL__N_131spherical_bessel_j0_kernel_cudaERNS_18TensorIteratorBaseEENKUlvE_clEvENKUlvE_clEvEUldE_St5arrayIPcLm2EEEEviT0_T1_.kd
    .uniform_work_group_size: 1
    .uses_dynamic_stack: false
    .vgpr_count:     46
    .vgpr_spill_count: 0
    .wavefront_size: 32
    .workgroup_processor_mode: 1
  - .args:
      - .offset:         0
        .size:           4
        .value_kind:     by_value
      - .offset:         4
        .size:           1
        .value_kind:     by_value
      - .offset:         8
        .size:           16
        .value_kind:     by_value
    .group_segment_fixed_size: 0
    .kernarg_segment_align: 8
    .kernarg_segment_size: 24
    .language:       OpenCL C
    .language_version:
      - 2
      - 0
    .max_flat_workgroup_size: 256
    .name:           _ZN2at6native29vectorized_elementwise_kernelILi2EZZZNS0_12_GLOBAL__N_131spherical_bessel_j0_kernel_cudaERNS_18TensorIteratorBaseEENKUlvE_clEvENKUlvE_clEvEUldE_St5arrayIPcLm2EEEEviT0_T1_
    .private_segment_fixed_size: 0
    .sgpr_count:     20
    .sgpr_spill_count: 0
    .symbol:         _ZN2at6native29vectorized_elementwise_kernelILi2EZZZNS0_12_GLOBAL__N_131spherical_bessel_j0_kernel_cudaERNS_18TensorIteratorBaseEENKUlvE_clEvENKUlvE_clEvEUldE_St5arrayIPcLm2EEEEviT0_T1_.kd
    .uniform_work_group_size: 1
    .uses_dynamic_stack: false
    .vgpr_count:     46
    .vgpr_spill_count: 0
    .wavefront_size: 32
    .workgroup_processor_mode: 1
  - .args:
      - .offset:         0
        .size:           4
        .value_kind:     by_value
      - .offset:         4
        .size:           1
        .value_kind:     by_value
      - .offset:         8
        .size:           16
        .value_kind:     by_value
      - .offset:         24
        .size:           1
        .value_kind:     by_value
      - .offset:         25
        .size:           1
        .value_kind:     by_value
      - .offset:         26
        .size:           1
        .value_kind:     by_value
      - .offset:         27
        .size:           1
        .value_kind:     by_value
    .group_segment_fixed_size: 0
    .kernarg_segment_align: 8
    .kernarg_segment_size: 28
    .language:       OpenCL C
    .language_version:
      - 2
      - 0
    .max_flat_workgroup_size: 256
    .name:           _ZN2at6native27unrolled_elementwise_kernelIZZZNS0_12_GLOBAL__N_131spherical_bessel_j0_kernel_cudaERNS_18TensorIteratorBaseEENKUlvE_clEvENKUlvE_clEvEUldE_St5arrayIPcLm2EELi4E23TrivialOffsetCalculatorILi1EjESC_NS0_6memory15LoadWithoutCastENSD_16StoreWithoutCastEEEviT_T0_T2_T3_T4_T5_
    .private_segment_fixed_size: 0
    .sgpr_count:     18
    .sgpr_spill_count: 0
    .symbol:         _ZN2at6native27unrolled_elementwise_kernelIZZZNS0_12_GLOBAL__N_131spherical_bessel_j0_kernel_cudaERNS_18TensorIteratorBaseEENKUlvE_clEvENKUlvE_clEvEUldE_St5arrayIPcLm2EELi4E23TrivialOffsetCalculatorILi1EjESC_NS0_6memory15LoadWithoutCastENSD_16StoreWithoutCastEEEviT_T0_T2_T3_T4_T5_.kd
    .uniform_work_group_size: 1
    .uses_dynamic_stack: false
    .vgpr_count:     46
    .vgpr_spill_count: 0
    .wavefront_size: 32
    .workgroup_processor_mode: 1
  - .args:
      - .offset:         0
        .size:           4
        .value_kind:     by_value
      - .offset:         8
        .size:           352
        .value_kind:     by_value
    .group_segment_fixed_size: 0
    .kernarg_segment_align: 8
    .kernarg_segment_size: 360
    .language:       OpenCL C
    .language_version:
      - 2
      - 0
    .max_flat_workgroup_size: 128
    .name:           _ZN2at6native32elementwise_kernel_manual_unrollILi128ELi4EZNS0_22gpu_kernel_impl_nocastIZZZNS0_12_GLOBAL__N_131spherical_bessel_j0_kernel_cudaERNS_18TensorIteratorBaseEENKUlvE_clEvENKUlvE_clEvEUldE_EEvS5_RKT_EUlibE_EEviT1_
    .private_segment_fixed_size: 0
    .sgpr_count:     58
    .sgpr_spill_count: 0
    .symbol:         _ZN2at6native32elementwise_kernel_manual_unrollILi128ELi4EZNS0_22gpu_kernel_impl_nocastIZZZNS0_12_GLOBAL__N_131spherical_bessel_j0_kernel_cudaERNS_18TensorIteratorBaseEENKUlvE_clEvENKUlvE_clEvEUldE_EEvS5_RKT_EUlibE_EEviT1_.kd
    .uniform_work_group_size: 1
    .uses_dynamic_stack: false
    .vgpr_count:     45
    .vgpr_spill_count: 0
    .wavefront_size: 32
    .workgroup_processor_mode: 1
  - .args:
      - .offset:         0
        .size:           4
        .value_kind:     by_value
      - .offset:         8
        .size:           32
        .value_kind:     by_value
    .group_segment_fixed_size: 0
    .kernarg_segment_align: 8
    .kernarg_segment_size: 40
    .language:       OpenCL C
    .language_version:
      - 2
      - 0
    .max_flat_workgroup_size: 128
    .name:           _ZN2at6native32elementwise_kernel_manual_unrollILi128ELi4EZNS0_15gpu_kernel_implIZZZNS0_12_GLOBAL__N_131spherical_bessel_j0_kernel_cudaERNS_18TensorIteratorBaseEENKUlvE_clEvENKUlvE_clEvEUldE_EEvS5_RKT_EUlibE_EEviT1_
    .private_segment_fixed_size: 0
    .sgpr_count:     30
    .sgpr_spill_count: 0
    .symbol:         _ZN2at6native32elementwise_kernel_manual_unrollILi128ELi4EZNS0_15gpu_kernel_implIZZZNS0_12_GLOBAL__N_131spherical_bessel_j0_kernel_cudaERNS_18TensorIteratorBaseEENKUlvE_clEvENKUlvE_clEvEUldE_EEvS5_RKT_EUlibE_EEviT1_.kd
    .uniform_work_group_size: 1
    .uses_dynamic_stack: false
    .vgpr_count:     40
    .vgpr_spill_count: 0
    .wavefront_size: 32
    .workgroup_processor_mode: 1
  - .args:
      - .offset:         0
        .size:           4
        .value_kind:     by_value
      - .offset:         8
        .size:           352
        .value_kind:     by_value
    .group_segment_fixed_size: 0
    .kernarg_segment_align: 8
    .kernarg_segment_size: 360
    .language:       OpenCL C
    .language_version:
      - 2
      - 0
    .max_flat_workgroup_size: 128
    .name:           _ZN2at6native32elementwise_kernel_manual_unrollILi128ELi4EZNS0_15gpu_kernel_implIZZZNS0_12_GLOBAL__N_131spherical_bessel_j0_kernel_cudaERNS_18TensorIteratorBaseEENKUlvE_clEvENKUlvE_clEvEUldE_EEvS5_RKT_EUlibE0_EEviT1_
    .private_segment_fixed_size: 0
    .sgpr_count:     70
    .sgpr_spill_count: 0
    .symbol:         _ZN2at6native32elementwise_kernel_manual_unrollILi128ELi4EZNS0_15gpu_kernel_implIZZZNS0_12_GLOBAL__N_131spherical_bessel_j0_kernel_cudaERNS_18TensorIteratorBaseEENKUlvE_clEvENKUlvE_clEvEUldE_EEvS5_RKT_EUlibE0_EEviT1_.kd
    .uniform_work_group_size: 1
    .uses_dynamic_stack: false
    .vgpr_count:     46
    .vgpr_spill_count: 0
    .wavefront_size: 32
    .workgroup_processor_mode: 1
  - .args:
      - .offset:         0
        .size:           4
        .value_kind:     by_value
      - .offset:         4
        .size:           1
        .value_kind:     by_value
      - .offset:         8
        .size:           16
        .value_kind:     by_value
    .group_segment_fixed_size: 0
    .kernarg_segment_align: 8
    .kernarg_segment_size: 24
    .language:       OpenCL C
    .language_version:
      - 2
      - 0
    .max_flat_workgroup_size: 256
    .name:           _ZN2at6native29vectorized_elementwise_kernelILi16EZZZNS0_12_GLOBAL__N_131spherical_bessel_j0_kernel_cudaERNS_18TensorIteratorBaseEENKUlvE_clEvENKUlvE0_clEvEUlfE_St5arrayIPcLm2EEEEviT0_T1_
    .private_segment_fixed_size: 0
    .sgpr_count:     15
    .sgpr_spill_count: 0
    .symbol:         _ZN2at6native29vectorized_elementwise_kernelILi16EZZZNS0_12_GLOBAL__N_131spherical_bessel_j0_kernel_cudaERNS_18TensorIteratorBaseEENKUlvE_clEvENKUlvE0_clEvEUlfE_St5arrayIPcLm2EEEEviT0_T1_.kd
    .uniform_work_group_size: 1
    .uses_dynamic_stack: false
    .vgpr_count:     22
    .vgpr_spill_count: 0
    .wavefront_size: 32
    .workgroup_processor_mode: 1
  - .args:
      - .offset:         0
        .size:           4
        .value_kind:     by_value
      - .offset:         4
        .size:           1
        .value_kind:     by_value
      - .offset:         8
        .size:           16
        .value_kind:     by_value
    .group_segment_fixed_size: 0
    .kernarg_segment_align: 8
    .kernarg_segment_size: 24
    .language:       OpenCL C
    .language_version:
      - 2
      - 0
    .max_flat_workgroup_size: 256
    .name:           _ZN2at6native29vectorized_elementwise_kernelILi8EZZZNS0_12_GLOBAL__N_131spherical_bessel_j0_kernel_cudaERNS_18TensorIteratorBaseEENKUlvE_clEvENKUlvE0_clEvEUlfE_St5arrayIPcLm2EEEEviT0_T1_
    .private_segment_fixed_size: 0
    .sgpr_count:     15
    .sgpr_spill_count: 0
    .symbol:         _ZN2at6native29vectorized_elementwise_kernelILi8EZZZNS0_12_GLOBAL__N_131spherical_bessel_j0_kernel_cudaERNS_18TensorIteratorBaseEENKUlvE_clEvENKUlvE0_clEvEUlfE_St5arrayIPcLm2EEEEviT0_T1_.kd
    .uniform_work_group_size: 1
    .uses_dynamic_stack: false
    .vgpr_count:     22
    .vgpr_spill_count: 0
    .wavefront_size: 32
    .workgroup_processor_mode: 1
  - .args:
      - .offset:         0
        .size:           4
        .value_kind:     by_value
      - .offset:         4
        .size:           1
        .value_kind:     by_value
      - .offset:         8
        .size:           16
        .value_kind:     by_value
    .group_segment_fixed_size: 0
    .kernarg_segment_align: 8
    .kernarg_segment_size: 24
    .language:       OpenCL C
    .language_version:
      - 2
      - 0
    .max_flat_workgroup_size: 256
    .name:           _ZN2at6native29vectorized_elementwise_kernelILi4EZZZNS0_12_GLOBAL__N_131spherical_bessel_j0_kernel_cudaERNS_18TensorIteratorBaseEENKUlvE_clEvENKUlvE0_clEvEUlfE_St5arrayIPcLm2EEEEviT0_T1_
    .private_segment_fixed_size: 0
    .sgpr_count:     15
    .sgpr_spill_count: 0
    .symbol:         _ZN2at6native29vectorized_elementwise_kernelILi4EZZZNS0_12_GLOBAL__N_131spherical_bessel_j0_kernel_cudaERNS_18TensorIteratorBaseEENKUlvE_clEvENKUlvE0_clEvEUlfE_St5arrayIPcLm2EEEEviT0_T1_.kd
    .uniform_work_group_size: 1
    .uses_dynamic_stack: false
    .vgpr_count:     22
    .vgpr_spill_count: 0
    .wavefront_size: 32
    .workgroup_processor_mode: 1
  - .args:
      - .offset:         0
        .size:           4
        .value_kind:     by_value
      - .offset:         4
        .size:           1
        .value_kind:     by_value
      - .offset:         8
        .size:           16
        .value_kind:     by_value
    .group_segment_fixed_size: 0
    .kernarg_segment_align: 8
    .kernarg_segment_size: 24
    .language:       OpenCL C
    .language_version:
      - 2
      - 0
    .max_flat_workgroup_size: 256
    .name:           _ZN2at6native29vectorized_elementwise_kernelILi2EZZZNS0_12_GLOBAL__N_131spherical_bessel_j0_kernel_cudaERNS_18TensorIteratorBaseEENKUlvE_clEvENKUlvE0_clEvEUlfE_St5arrayIPcLm2EEEEviT0_T1_
    .private_segment_fixed_size: 0
    .sgpr_count:     15
    .sgpr_spill_count: 0
    .symbol:         _ZN2at6native29vectorized_elementwise_kernelILi2EZZZNS0_12_GLOBAL__N_131spherical_bessel_j0_kernel_cudaERNS_18TensorIteratorBaseEENKUlvE_clEvENKUlvE0_clEvEUlfE_St5arrayIPcLm2EEEEviT0_T1_.kd
    .uniform_work_group_size: 1
    .uses_dynamic_stack: false
    .vgpr_count:     22
    .vgpr_spill_count: 0
    .wavefront_size: 32
    .workgroup_processor_mode: 1
  - .args:
      - .offset:         0
        .size:           4
        .value_kind:     by_value
      - .offset:         4
        .size:           1
        .value_kind:     by_value
      - .offset:         8
        .size:           16
        .value_kind:     by_value
      - .offset:         24
        .size:           1
        .value_kind:     by_value
      - .offset:         25
        .size:           1
        .value_kind:     by_value
      - .offset:         26
        .size:           1
        .value_kind:     by_value
      - .offset:         27
        .size:           1
        .value_kind:     by_value
    .group_segment_fixed_size: 0
    .kernarg_segment_align: 8
    .kernarg_segment_size: 28
    .language:       OpenCL C
    .language_version:
      - 2
      - 0
    .max_flat_workgroup_size: 256
    .name:           _ZN2at6native27unrolled_elementwise_kernelIZZZNS0_12_GLOBAL__N_131spherical_bessel_j0_kernel_cudaERNS_18TensorIteratorBaseEENKUlvE_clEvENKUlvE0_clEvEUlfE_St5arrayIPcLm2EELi4E23TrivialOffsetCalculatorILi1EjESC_NS0_6memory15LoadWithoutCastENSD_16StoreWithoutCastEEEviT_T0_T2_T3_T4_T5_
    .private_segment_fixed_size: 0
    .sgpr_count:     14
    .sgpr_spill_count: 0
    .symbol:         _ZN2at6native27unrolled_elementwise_kernelIZZZNS0_12_GLOBAL__N_131spherical_bessel_j0_kernel_cudaERNS_18TensorIteratorBaseEENKUlvE_clEvENKUlvE0_clEvEUlfE_St5arrayIPcLm2EELi4E23TrivialOffsetCalculatorILi1EjESC_NS0_6memory15LoadWithoutCastENSD_16StoreWithoutCastEEEviT_T0_T2_T3_T4_T5_.kd
    .uniform_work_group_size: 1
    .uses_dynamic_stack: false
    .vgpr_count:     22
    .vgpr_spill_count: 0
    .wavefront_size: 32
    .workgroup_processor_mode: 1
  - .args:
      - .offset:         0
        .size:           4
        .value_kind:     by_value
      - .offset:         8
        .size:           352
        .value_kind:     by_value
    .group_segment_fixed_size: 0
    .kernarg_segment_align: 8
    .kernarg_segment_size: 360
    .language:       OpenCL C
    .language_version:
      - 2
      - 0
    .max_flat_workgroup_size: 128
    .name:           _ZN2at6native32elementwise_kernel_manual_unrollILi128ELi4EZNS0_22gpu_kernel_impl_nocastIZZZNS0_12_GLOBAL__N_131spherical_bessel_j0_kernel_cudaERNS_18TensorIteratorBaseEENKUlvE_clEvENKUlvE0_clEvEUlfE_EEvS5_RKT_EUlibE_EEviT1_
    .private_segment_fixed_size: 0
    .sgpr_count:     58
    .sgpr_spill_count: 0
    .symbol:         _ZN2at6native32elementwise_kernel_manual_unrollILi128ELi4EZNS0_22gpu_kernel_impl_nocastIZZZNS0_12_GLOBAL__N_131spherical_bessel_j0_kernel_cudaERNS_18TensorIteratorBaseEENKUlvE_clEvENKUlvE0_clEvEUlfE_EEvS5_RKT_EUlibE_EEviT1_.kd
    .uniform_work_group_size: 1
    .uses_dynamic_stack: false
    .vgpr_count:     22
    .vgpr_spill_count: 0
    .wavefront_size: 32
    .workgroup_processor_mode: 1
  - .args:
      - .offset:         0
        .size:           4
        .value_kind:     by_value
      - .offset:         8
        .size:           32
        .value_kind:     by_value
    .group_segment_fixed_size: 0
    .kernarg_segment_align: 8
    .kernarg_segment_size: 40
    .language:       OpenCL C
    .language_version:
      - 2
      - 0
    .max_flat_workgroup_size: 128
    .name:           _ZN2at6native32elementwise_kernel_manual_unrollILi128ELi4EZNS0_15gpu_kernel_implIZZZNS0_12_GLOBAL__N_131spherical_bessel_j0_kernel_cudaERNS_18TensorIteratorBaseEENKUlvE_clEvENKUlvE0_clEvEUlfE_EEvS5_RKT_EUlibE_EEviT1_
    .private_segment_fixed_size: 0
    .sgpr_count:     28
    .sgpr_spill_count: 0
    .symbol:         _ZN2at6native32elementwise_kernel_manual_unrollILi128ELi4EZNS0_15gpu_kernel_implIZZZNS0_12_GLOBAL__N_131spherical_bessel_j0_kernel_cudaERNS_18TensorIteratorBaseEENKUlvE_clEvENKUlvE0_clEvEUlfE_EEvS5_RKT_EUlibE_EEviT1_.kd
    .uniform_work_group_size: 1
    .uses_dynamic_stack: false
    .vgpr_count:     18
    .vgpr_spill_count: 0
    .wavefront_size: 32
    .workgroup_processor_mode: 1
  - .args:
      - .offset:         0
        .size:           4
        .value_kind:     by_value
      - .offset:         8
        .size:           352
        .value_kind:     by_value
    .group_segment_fixed_size: 0
    .kernarg_segment_align: 8
    .kernarg_segment_size: 360
    .language:       OpenCL C
    .language_version:
      - 2
      - 0
    .max_flat_workgroup_size: 128
    .name:           _ZN2at6native32elementwise_kernel_manual_unrollILi128ELi4EZNS0_15gpu_kernel_implIZZZNS0_12_GLOBAL__N_131spherical_bessel_j0_kernel_cudaERNS_18TensorIteratorBaseEENKUlvE_clEvENKUlvE0_clEvEUlfE_EEvS5_RKT_EUlibE0_EEviT1_
    .private_segment_fixed_size: 0
    .sgpr_count:     70
    .sgpr_spill_count: 0
    .symbol:         _ZN2at6native32elementwise_kernel_manual_unrollILi128ELi4EZNS0_15gpu_kernel_implIZZZNS0_12_GLOBAL__N_131spherical_bessel_j0_kernel_cudaERNS_18TensorIteratorBaseEENKUlvE_clEvENKUlvE0_clEvEUlfE_EEvS5_RKT_EUlibE0_EEviT1_.kd
    .uniform_work_group_size: 1
    .uses_dynamic_stack: false
    .vgpr_count:     21
    .vgpr_spill_count: 0
    .wavefront_size: 32
    .workgroup_processor_mode: 1
amdhsa.target:   amdgcn-amd-amdhsa--gfx1030
amdhsa.version:
  - 1
  - 2
...

	.end_amdgpu_metadata
